;; amdgpu-corpus repo=ROCm/rocFFT kind=compiled arch=gfx1201 opt=O3
	.text
	.amdgcn_target "amdgcn-amd-amdhsa--gfx1201"
	.amdhsa_code_object_version 6
	.protected	bluestein_single_back_len595_dim1_dp_op_CI_CI ; -- Begin function bluestein_single_back_len595_dim1_dp_op_CI_CI
	.globl	bluestein_single_back_len595_dim1_dp_op_CI_CI
	.p2align	8
	.type	bluestein_single_back_len595_dim1_dp_op_CI_CI,@function
bluestein_single_back_len595_dim1_dp_op_CI_CI: ; @bluestein_single_back_len595_dim1_dp_op_CI_CI
; %bb.0:
	s_load_b128 s[16:19], s[0:1], 0x28
	v_mul_u32_u24_e32 v1, 0xf10, v0
	s_mov_b32 s2, exec_lo
	s_delay_alu instid0(VALU_DEP_1) | instskip(NEXT) | instid1(VALU_DEP_1)
	v_lshrrev_b32_e32 v1, 16, v1
	v_mad_co_u64_u32 v[144:145], null, ttmp9, 3, v[1:2]
	v_mov_b32_e32 v145, 0
                                        ; kill: def $vgpr2 killed $sgpr0 killed $exec
	s_wait_kmcnt 0x0
	s_delay_alu instid0(VALU_DEP_1)
	v_cmpx_gt_u64_e64 s[16:17], v[144:145]
	s_cbranch_execz .LBB0_10
; %bb.1:
	s_clause 0x1
	s_load_b128 s[4:7], s[0:1], 0x18
	s_load_b128 s[8:11], s[0:1], 0x0
	v_mul_lo_u16 v1, v1, 17
	s_mov_b32 s16, 0xaaaaaaaa
	s_mov_b32 s24, 0x37e14327
	;; [unrolled: 1-line block ×4, first 2 shown]
	v_sub_nc_u16 v152, v0, v1
	s_mov_b32 s20, 0xe976ee23
	s_mov_b32 s22, 0xb247c609
	;; [unrolled: 1-line block ×4, first 2 shown]
	v_and_b32_e32 v182, 0xffff, v152
	v_mul_lo_u16 v162, v152, 7
	s_mov_b32 s23, 0x3fd5d0dc
	s_mov_b32 s29, 0xbfd5d0dc
	;; [unrolled: 1-line block ×3, first 2 shown]
	s_load_b64 s[0:1], s[0:1], 0x38
	v_and_b32_e32 v162, 0xffff, v162
	s_wait_kmcnt 0x0
	s_load_b128 s[12:15], s[4:5], 0x0
	s_movk_i32 s4, 0xe130
	s_mov_b32 s5, -1
	s_wait_kmcnt 0x0
	v_mad_co_u64_u32 v[0:1], null, s14, v144, 0
	v_mad_co_u64_u32 v[2:3], null, s12, v182, 0
	s_mul_u64 s[2:3], s[12:13], 0x550
	s_mul_u64 s[4:5], s[12:13], s[4:5]
	s_delay_alu instid0(VALU_DEP_1) | instskip(SKIP_2) | instid1(VALU_DEP_1)
	v_mad_co_u64_u32 v[4:5], null, s15, v144, v[1:2]
	s_mov_b32 s14, 0x429ad128
	s_mov_b32 s15, 0x3febfeb5
	v_mov_b32_e32 v1, v4
	s_delay_alu instid0(VALU_DEP_3) | instskip(SKIP_2) | instid1(VALU_DEP_4)
	v_mad_co_u64_u32 v[5:6], null, s13, v182, v[3:4]
	v_lshlrev_b32_e32 v153, 4, v182
	v_or_b32_e32 v8, 0x220, v182
	v_lshlrev_b64_e32 v[0:1], 4, v[0:1]
	v_add_co_u32 v253, null, v182, 34
	v_mov_b32_e32 v3, v5
	s_delay_alu instid0(VALU_DEP_4) | instskip(NEXT) | instid1(VALU_DEP_4)
	v_mad_co_u64_u32 v[4:5], null, s12, v8, 0
	v_add_co_u32 v10, vcc_lo, s18, v0
	s_delay_alu instid0(VALU_DEP_3)
	v_lshlrev_b64_e32 v[2:3], 4, v[2:3]
	v_add_co_ci_u32_e32 v11, vcc_lo, s19, v1, vcc_lo
	s_mov_b32 s18, 0x5476071b
	s_mov_b32 s19, 0x3fe77f67
	s_wait_alu 0xfffe
	s_mov_b32 s26, s18
	v_add_co_u32 v6, vcc_lo, v10, v2
	s_wait_alu 0xfffd
	v_add_co_ci_u32_e32 v7, vcc_lo, v11, v3, vcc_lo
	global_load_b128 v[96:99], v153, s[8:9]
	global_load_b128 v[0:3], v[6:7], off
	scratch_store_b32 off, v8, off offset:488 ; 4-byte Folded Spill
	v_mad_co_u64_u32 v[8:9], null, s13, v8, v[5:6]
	s_mulk_i32 s13, 0xe680
	s_delay_alu instid0(VALU_DEP_1) | instskip(NEXT) | instid1(VALU_DEP_1)
	v_mov_b32_e32 v5, v8
	v_lshlrev_b64_e32 v[4:5], 4, v[4:5]
	s_delay_alu instid0(VALU_DEP_1) | instskip(SKIP_1) | instid1(VALU_DEP_2)
	v_add_co_u32 v4, vcc_lo, v10, v4
	s_wait_alu 0xfffd
	v_add_co_ci_u32_e32 v5, vcc_lo, v11, v5, vcc_lo
	v_add_co_u32 v12, vcc_lo, v6, s2
	s_wait_alu 0xfffd
	v_add_co_ci_u32_e32 v13, vcc_lo, s3, v7, vcc_lo
	global_load_b128 v[56:59], v153, s[8:9] offset:8704
	global_load_b128 v[4:7], v[4:5], off
	global_load_b128 v[92:95], v153, s[8:9] offset:1360
	global_load_b128 v[8:11], v[12:13], off
	v_add_co_u32 v12, vcc_lo, v12, s2
	s_wait_alu 0xfffd
	v_add_co_ci_u32_e32 v13, vcc_lo, s3, v13, vcc_lo
	global_load_b128 v[84:87], v153, s[8:9] offset:2720
	v_add_co_u32 v20, vcc_lo, v12, s2
	s_wait_alu 0xfffd
	v_add_co_ci_u32_e32 v21, vcc_lo, s3, v13, vcc_lo
	global_load_b128 v[12:15], v[12:13], off
	global_load_b128 v[80:83], v153, s[8:9] offset:4080
	global_load_b128 v[16:19], v[20:21], off
	v_add_co_u32 v20, vcc_lo, v20, s2
	s_wait_alu 0xfffd
	v_add_co_ci_u32_e32 v21, vcc_lo, s3, v21, vcc_lo
	global_load_b128 v[88:91], v153, s[8:9] offset:5440
	v_add_co_u32 v28, vcc_lo, v20, s2
	s_wait_alu 0xfffd
	v_add_co_ci_u32_e32 v29, vcc_lo, s3, v21, vcc_lo
	;; [unrolled: 10-line block ×4, first 2 shown]
	global_load_b128 v[36:39], v[36:37], off
	global_load_b128 v[60:63], v153, s[8:9] offset:2992
	global_load_b128 v[40:43], v[44:45], off
	s_wait_loadcnt 0x14
	v_mul_f64_e32 v[46:47], v[2:3], v[98:99]
	v_mul_f64_e32 v[48:49], v[0:1], v[98:99]
	s_wait_loadcnt 0x13
	scratch_store_b128 off, v[56:59], off offset:492 ; 16-byte Folded Spill
	s_wait_loadcnt 0x12
	v_mul_f64_e32 v[50:51], v[6:7], v[58:59]
	v_mul_f64_e32 v[52:53], v[4:5], v[58:59]
	s_wait_loadcnt 0x10
	v_mul_f64_e32 v[54:55], v[10:11], v[94:95]
	scratch_store_b128 off, v[92:95], off offset:636 ; 16-byte Folded Spill
	s_wait_loadcnt 0xf
	scratch_store_b128 off, v[84:87], off offset:604 ; 16-byte Folded Spill
	v_fma_f64 v[0:1], v[0:1], v[96:97], v[46:47]
	s_wait_loadcnt 0xd
	scratch_store_b128 off, v[80:83], off offset:588 ; 16-byte Folded Spill
	v_mul_f64_e32 v[46:47], v[8:9], v[94:95]
	v_fma_f64 v[2:3], v[2:3], v[96:97], -v[48:49]
	v_mul_f64_e32 v[48:49], v[14:15], v[86:87]
	s_wait_loadcnt 0xb
	scratch_store_b128 off, v[88:91], off offset:620 ; 16-byte Folded Spill
	s_wait_loadcnt 0x9
	scratch_store_b128 off, v[68:71], off offset:540 ; 16-byte Folded Spill
	s_wait_loadcnt 0x7
	scratch_store_b128 off, v[72:75], off offset:556 ; 16-byte Folded Spill
	s_wait_loadcnt 0x5
	scratch_store_b128 off, v[76:79], off offset:572 ; 16-byte Folded Spill
	v_fma_f64 v[4:5], v[4:5], v[56:57], v[50:51]
	v_fma_f64 v[6:7], v[6:7], v[56:57], -v[52:53]
	v_mul_f64_e32 v[50:51], v[12:13], v[86:87]
	v_mul_f64_e32 v[52:53], v[18:19], v[82:83]
	v_fma_f64 v[8:9], v[8:9], v[92:93], v[54:55]
	v_mul_f64_e32 v[54:55], v[22:23], v[90:91]
	global_load_b128 v[56:59], v153, s[8:9] offset:4352
	scratch_store_b128 off, v[96:99], off offset:1036 ; 16-byte Folded Spill
	s_wait_loadcnt 0x4
	scratch_store_b128 off, v[64:67], off offset:524 ; 16-byte Folded Spill
	s_wait_loadcnt 0x2
	scratch_store_b128 off, v[60:63], off offset:508 ; 16-byte Folded Spill
	v_fma_f64 v[10:11], v[10:11], v[92:93], -v[46:47]
	v_mul_f64_e32 v[46:47], v[16:17], v[82:83]
	v_fma_f64 v[12:13], v[12:13], v[84:85], v[48:49]
	v_mul_f64_e32 v[48:49], v[20:21], v[90:91]
	v_fma_f64 v[14:15], v[14:15], v[84:85], -v[50:51]
	v_mul_f64_e32 v[50:51], v[26:27], v[70:71]
	v_fma_f64 v[16:17], v[16:17], v[80:81], v[52:53]
	v_fma_f64 v[20:21], v[20:21], v[88:89], v[54:55]
	v_mul_f64_e32 v[54:55], v[34:35], v[78:79]
	v_mul_f64_e32 v[52:53], v[30:31], v[74:75]
	v_fma_f64 v[18:19], v[18:19], v[80:81], -v[46:47]
	v_mul_f64_e32 v[46:47], v[24:25], v[70:71]
	v_fma_f64 v[22:23], v[22:23], v[88:89], -v[48:49]
	v_mul_f64_e32 v[48:49], v[28:29], v[74:75]
	v_fma_f64 v[24:25], v[24:25], v[68:69], v[50:51]
	v_mul_f64_e32 v[50:51], v[38:39], v[66:67]
	v_fma_f64 v[28:29], v[28:29], v[72:73], v[52:53]
	s_wait_loadcnt 0x1
	v_mul_f64_e32 v[52:53], v[42:43], v[62:63]
	v_fma_f64 v[26:27], v[26:27], v[68:69], -v[46:47]
	v_mul_f64_e32 v[46:47], v[32:33], v[78:79]
	v_fma_f64 v[32:33], v[32:33], v[76:77], v[54:55]
	v_add_co_u32 v54, vcc_lo, v44, s2
	s_wait_alu 0xfffd
	v_add_co_ci_u32_e32 v55, vcc_lo, s3, v45, vcc_lo
	v_fma_f64 v[30:31], v[30:31], v[72:73], -v[48:49]
	v_mul_f64_e32 v[48:49], v[36:37], v[66:67]
	v_fma_f64 v[36:37], v[36:37], v[64:65], v[50:51]
	v_fma_f64 v[34:35], v[34:35], v[76:77], -v[46:47]
	v_mul_f64_e32 v[46:47], v[40:41], v[62:63]
	v_fma_f64 v[40:41], v[40:41], v[60:61], v[52:53]
	v_add_co_u32 v52, vcc_lo, v54, s2
	s_wait_alu 0xfffd
	v_add_co_ci_u32_e32 v53, vcc_lo, s3, v55, vcc_lo
	v_fma_f64 v[38:39], v[38:39], v[64:65], -v[48:49]
	v_fma_f64 v[42:43], v[42:43], v[60:61], -v[46:47]
	global_load_b128 v[44:47], v[54:55], off
	s_wait_loadcnt 0x1
	scratch_store_b128 off, v[56:59], off offset:924 ; 16-byte Folded Spill
	s_wait_loadcnt 0x0
	v_mul_f64_e32 v[48:49], v[46:47], v[58:59]
	v_mul_f64_e32 v[50:51], v[44:45], v[58:59]
	s_delay_alu instid0(VALU_DEP_2) | instskip(NEXT) | instid1(VALU_DEP_2)
	v_fma_f64 v[44:45], v[44:45], v[56:57], v[48:49]
	v_fma_f64 v[46:47], v[46:47], v[56:57], -v[50:51]
	global_load_b128 v[58:61], v153, s[8:9] offset:5712
	global_load_b128 v[48:51], v[52:53], off
	s_wait_loadcnt 0x1
	scratch_store_b128 off, v[58:61], off offset:956 ; 16-byte Folded Spill
	s_wait_loadcnt 0x0
	v_mul_f64_e32 v[56:57], v[48:49], v[60:61]
	v_mul_f64_e32 v[54:55], v[50:51], v[60:61]
	s_delay_alu instid0(VALU_DEP_2) | instskip(SKIP_3) | instid1(VALU_DEP_4)
	v_fma_f64 v[50:51], v[50:51], v[58:59], -v[56:57]
	v_add_co_u32 v56, vcc_lo, v52, s2
	s_wait_alu 0xfffd
	v_add_co_ci_u32_e32 v57, vcc_lo, s3, v53, vcc_lo
	v_fma_f64 v[48:49], v[48:49], v[58:59], v[54:55]
	global_load_b128 v[62:65], v153, s[8:9] offset:7072
	global_load_b128 v[52:55], v[56:57], off
	s_wait_loadcnt 0x1
	scratch_store_b128 off, v[62:65], off offset:988 ; 16-byte Folded Spill
	s_wait_loadcnt 0x0
	v_mul_f64_e32 v[60:61], v[52:53], v[64:65]
	v_mul_f64_e32 v[58:59], v[54:55], v[64:65]
	s_delay_alu instid0(VALU_DEP_2) | instskip(SKIP_3) | instid1(VALU_DEP_4)
	v_fma_f64 v[54:55], v[54:55], v[62:63], -v[60:61]
	v_add_co_u32 v60, vcc_lo, v56, s2
	s_wait_alu 0xfffd
	v_add_co_ci_u32_e32 v61, vcc_lo, s3, v57, vcc_lo
	v_fma_f64 v[52:53], v[52:53], v[62:63], v[58:59]
	;; [unrolled: 13-line block ×8, first 2 shown]
	global_load_b128 v[90:93], v153, s[8:9] offset:7344
	global_load_b128 v[80:83], v[84:85], off
	s_wait_loadcnt 0x1
	scratch_store_b128 off, v[90:93], off offset:972 ; 16-byte Folded Spill
	s_wait_loadcnt 0x0
	v_mul_f64_e32 v[88:89], v[80:81], v[92:93]
	v_mul_f64_e32 v[86:87], v[82:83], v[92:93]
	s_delay_alu instid0(VALU_DEP_2) | instskip(SKIP_3) | instid1(VALU_DEP_3)
	v_fma_f64 v[82:83], v[82:83], v[90:91], -v[88:89]
	v_mad_co_u64_u32 v[88:89], null, 0xffffe680, s12, v[84:85]
	s_wait_alu 0xfffe
	s_sub_co_i32 s12, s13, s12
	v_fma_f64 v[80:81], v[80:81], v[90:91], v[86:87]
	s_wait_alu 0xfffe
	s_delay_alu instid0(VALU_DEP_2)
	v_add_nc_u32_e32 v89, s12, v89
	global_load_b128 v[94:97], v153, s[8:9] offset:816
	global_load_b128 v[84:87], v[88:89], off
	s_mov_b32 s12, 0x37c3f68c
	s_mov_b32 s13, 0x3fdc38aa
	s_wait_loadcnt 0x1
	scratch_store_b128 off, v[94:97], off offset:844 ; 16-byte Folded Spill
	s_wait_loadcnt 0x0
	v_mul_f64_e32 v[92:93], v[84:85], v[96:97]
	v_mul_f64_e32 v[90:91], v[86:87], v[96:97]
	s_delay_alu instid0(VALU_DEP_2) | instskip(SKIP_3) | instid1(VALU_DEP_4)
	v_fma_f64 v[86:87], v[86:87], v[94:95], -v[92:93]
	v_add_co_u32 v92, vcc_lo, v88, s2
	s_wait_alu 0xfffd
	v_add_co_ci_u32_e32 v93, vcc_lo, s3, v89, vcc_lo
	v_fma_f64 v[84:85], v[84:85], v[94:95], v[90:91]
	global_load_b128 v[98:101], v153, s[8:9] offset:2176
	global_load_b128 v[88:91], v[92:93], off
	s_wait_loadcnt 0x1
	scratch_store_b128 off, v[98:101], off offset:828 ; 16-byte Folded Spill
	s_wait_loadcnt 0x0
	v_mul_f64_e32 v[96:97], v[88:89], v[100:101]
	v_mul_f64_e32 v[94:95], v[90:91], v[100:101]
	s_delay_alu instid0(VALU_DEP_2) | instskip(SKIP_3) | instid1(VALU_DEP_4)
	v_fma_f64 v[90:91], v[90:91], v[98:99], -v[96:97]
	v_add_co_u32 v96, vcc_lo, v92, s2
	s_wait_alu 0xfffd
	v_add_co_ci_u32_e32 v97, vcc_lo, s3, v93, vcc_lo
	v_fma_f64 v[88:89], v[88:89], v[98:99], v[94:95]
	global_load_b128 v[102:105], v153, s[8:9] offset:3536
	global_load_b128 v[92:95], v[96:97], off
	;; [unrolled: 13-line block ×12, first 2 shown]
	v_add_co_u32 v136, vcc_lo, v136, s2
	s_wait_alu 0xfffd
	v_add_co_ci_u32_e32 v137, vcc_lo, s3, v137, vcc_lo
	s_mov_b32 s2, 0x36b3c0b5
	s_mov_b32 s3, 0x3fac98ee
	v_cmp_eq_u16_e64 vcc_lo, 0, v152
	s_wait_loadcnt 0x1
	scratch_store_b128 off, v[145:148], off offset:780 ; 16-byte Folded Spill
	s_wait_loadcnt 0x0
	v_mul_f64_e32 v[138:139], v[134:135], v[147:148]
	v_mul_f64_e32 v[140:141], v[132:133], v[147:148]
	s_delay_alu instid0(VALU_DEP_2) | instskip(NEXT) | instid1(VALU_DEP_2)
	v_fma_f64 v[132:133], v[132:133], v[145:146], v[138:139]
	v_fma_f64 v[134:135], v[134:135], v[145:146], -v[140:141]
	global_load_b128 v[136:139], v[136:137], off
	global_load_b128 v[145:148], v153, s[8:9] offset:9248
	s_wait_loadcnt 0x0
	v_mul_f64_e32 v[140:141], v[138:139], v[147:148]
	v_mul_f64_e32 v[142:143], v[136:137], v[147:148]
	s_delay_alu instid0(VALU_DEP_2) | instskip(SKIP_2) | instid1(VALU_DEP_4)
	v_fma_f64 v[136:137], v[136:137], v[145:146], v[140:141]
	v_mul_hi_u32 v140, 0xaaaaaaab, v144
	v_mov_b32_e32 v141, v144
	v_fma_f64 v[138:139], v[138:139], v[145:146], -v[142:143]
	s_clause 0x1
	scratch_store_b128 off, v[145:148], off offset:796
	scratch_store_b64 off, v[141:142], off offset:480
	v_lshrrev_b32_e32 v140, 1, v140
	s_delay_alu instid0(VALU_DEP_1) | instskip(NEXT) | instid1(VALU_DEP_1)
	v_lshl_add_u32 v140, v140, 1, v140
	v_sub_nc_u32_e32 v140, v144, v140
	s_delay_alu instid0(VALU_DEP_1) | instskip(NEXT) | instid1(VALU_DEP_1)
	v_mul_u32_u24_e32 v140, 0x253, v140
	v_lshlrev_b32_e32 v208, 4, v140
	s_delay_alu instid0(VALU_DEP_1)
	v_add_nc_u32_e32 v252, v153, v208
	ds_store_b128 v252, v[0:3]
	ds_store_b128 v252, v[4:7] offset:8704
	ds_store_b128 v252, v[8:11] offset:1360
	;; [unrolled: 1-line block ×34, first 2 shown]
	s_load_b128 s[4:7], s[6:7], 0x0
	global_wb scope:SCOPE_SE
	s_wait_storecnt_dscnt 0x0
	s_wait_kmcnt 0x0
	s_barrier_signal -1
	s_barrier_wait -1
	global_inv scope:SCOPE_SE
	ds_load_b128 v[4:7], v252 offset:1360
	ds_load_b128 v[8:11], v252 offset:8160
	v_lshl_add_u32 v183, v162, 4, v208
	s_wait_dscnt 0x0
	v_add_f64_e32 v[0:1], v[4:5], v[8:9]
	v_add_f64_e32 v[2:3], v[6:7], v[10:11]
	v_add_f64_e64 v[20:21], v[4:5], -v[8:9]
	v_add_f64_e64 v[22:23], v[6:7], -v[10:11]
	ds_load_b128 v[4:7], v252 offset:6800
	ds_load_b128 v[8:11], v252 offset:2720
	s_wait_dscnt 0x0
	v_add_f64_e32 v[38:39], v[8:9], v[4:5]
	v_add_f64_e32 v[36:37], v[10:11], v[6:7]
	v_add_f64_e64 v[34:35], v[8:9], -v[4:5]
	v_add_f64_e64 v[32:33], v[10:11], -v[6:7]
	ds_load_b128 v[4:7], v252 offset:4080
	ds_load_b128 v[8:11], v252 offset:5440
	;; [unrolled: 7-line block ×3, first 2 shown]
	v_add_f64_e64 v[162:163], v[36:37], -v[2:3]
	v_add_f64_e64 v[166:167], v[34:35], -v[20:21]
	;; [unrolled: 1-line block ×3, first 2 shown]
	s_wait_dscnt 0x0
	v_add_f64_e32 v[40:41], v[8:9], v[4:5]
	v_add_f64_e32 v[42:43], v[10:11], v[6:7]
	v_add_f64_e64 v[44:45], v[8:9], -v[4:5]
	v_add_f64_e64 v[46:47], v[10:11], -v[6:7]
	ds_load_b128 v[4:7], v252 offset:2992
	ds_load_b128 v[8:11], v252 offset:7072
	v_add_f64_e64 v[164:165], v[26:27], -v[36:37]
	v_add_f64_e64 v[168:169], v[30:31], -v[32:33]
	s_wait_dscnt 0x0
	v_add_f64_e32 v[62:63], v[4:5], v[8:9]
	v_add_f64_e32 v[60:61], v[6:7], v[10:11]
	v_add_f64_e64 v[58:59], v[4:5], -v[8:9]
	v_add_f64_e64 v[56:57], v[6:7], -v[10:11]
	ds_load_b128 v[4:7], v252 offset:5712
	ds_load_b128 v[8:11], v252 offset:4352
	s_wait_dscnt 0x0
	v_add_f64_e32 v[48:49], v[8:9], v[4:5]
	v_add_f64_e32 v[50:51], v[10:11], v[6:7]
	v_add_f64_e64 v[52:53], v[4:5], -v[8:9]
	v_add_f64_e64 v[54:55], v[6:7], -v[10:11]
	ds_load_b128 v[4:7], v252 offset:1904
	ds_load_b128 v[8:11], v252 offset:8704
	v_mul_f64_e32 v[168:169], s[20:21], v[168:169]
	s_wait_dscnt 0x0
	v_add_f64_e32 v[64:65], v[4:5], v[8:9]
	v_add_f64_e32 v[66:67], v[6:7], v[10:11]
	v_add_f64_e64 v[68:69], v[4:5], -v[8:9]
	v_add_f64_e64 v[70:71], v[6:7], -v[10:11]
	ds_load_b128 v[4:7], v252 offset:7344
	ds_load_b128 v[8:11], v252 offset:3264
	s_wait_dscnt 0x0
	v_add_f64_e32 v[86:87], v[8:9], v[4:5]
	v_add_f64_e32 v[84:85], v[10:11], v[6:7]
	v_add_f64_e64 v[82:83], v[8:9], -v[4:5]
	v_add_f64_e64 v[80:81], v[10:11], -v[6:7]
	ds_load_b128 v[4:7], v252 offset:4624
	ds_load_b128 v[8:11], v252 offset:5984
	;; [unrolled: 7-line block ×8, first 2 shown]
	s_wait_dscnt 0x0
	v_add_f64_e32 v[120:121], v[8:9], v[4:5]
	v_add_f64_e64 v[124:125], v[4:5], -v[8:9]
	v_add_f64_e32 v[4:5], v[38:39], v[0:1]
	v_add_f64_e32 v[122:123], v[10:11], v[6:7]
	v_add_f64_e64 v[126:127], v[6:7], -v[10:11]
	v_add_f64_e32 v[8:9], v[134:135], v[112:113]
	s_delay_alu instid0(VALU_DEP_4)
	v_add_f64_e32 v[158:159], v[24:25], v[4:5]
	v_add_f64_e32 v[4:5], v[36:37], v[2:3]
	;; [unrolled: 1-line block ×3, first 2 shown]
	v_add_f64_e64 v[2:3], v[2:3], -v[26:27]
	v_add_f64_e32 v[136:137], v[120:121], v[8:9]
	v_add_f64_e32 v[8:9], v[132:133], v[114:115]
	;; [unrolled: 1-line block ×3, first 2 shown]
	ds_load_b128 v[4:7], v252
	v_add_f64_e32 v[172:173], v[36:37], v[20:21]
	v_mul_f64_e32 v[2:3], s[24:25], v[2:3]
	v_add_f64_e32 v[138:139], v[122:123], v[8:9]
	ds_load_b128 v[8:11], v252 offset:1088
	s_wait_dscnt 0x1
	v_add_f64_e32 v[154:155], v[4:5], v[158:159]
	v_add_f64_e32 v[4:5], v[62:63], v[40:41]
	s_wait_dscnt 0x0
	v_add_f64_e32 v[8:9], v[8:9], v[136:137]
	v_add_f64_e32 v[156:157], v[6:7], v[160:161]
	v_fma_f64 v[26:27], v[162:163], s[26:27], -v[2:3]
	v_fma_f64 v[2:3], v[164:165], s[2:3], v[2:3]
	v_add_f64_e32 v[10:11], v[10:11], v[138:139]
	v_fma_f64 v[158:159], v[158:159], s[16:17], v[154:155]
	v_add_f64_e32 v[148:149], v[48:49], v[4:5]
	v_add_f64_e32 v[4:5], v[60:61], v[42:43]
	v_fma_f64 v[136:137], v[136:137], s[16:17], v[8:9]
	v_fma_f64 v[160:161], v[160:161], s[16:17], v[156:157]
	;; [unrolled: 1-line block ×3, first 2 shown]
	s_delay_alu instid0(VALU_DEP_4)
	v_add_f64_e32 v[150:151], v[50:51], v[4:5]
	ds_load_b128 v[4:7], v252 offset:272
	v_add_f64_e32 v[26:27], v[26:27], v[160:161]
	v_add_f64_e32 v[2:3], v[2:3], v[160:161]
	s_wait_dscnt 0x0
	v_add_f64_e32 v[16:17], v[4:5], v[148:149]
	v_add_f64_e32 v[4:5], v[86:87], v[64:65]
	;; [unrolled: 1-line block ×3, first 2 shown]
	s_delay_alu instid0(VALU_DEP_3) | instskip(NEXT) | instid1(VALU_DEP_3)
	v_fma_f64 v[148:149], v[148:149], s[16:17], v[16:17]
	v_add_f64_e32 v[144:145], v[72:73], v[4:5]
	v_add_f64_e32 v[4:5], v[84:85], v[66:67]
	s_delay_alu instid0(VALU_DEP_4) | instskip(NEXT) | instid1(VALU_DEP_2)
	v_fma_f64 v[150:151], v[150:151], s[16:17], v[18:19]
	v_add_f64_e32 v[146:147], v[74:75], v[4:5]
	ds_load_b128 v[4:7], v252 offset:544
	s_wait_dscnt 0x0
	v_add_f64_e32 v[12:13], v[4:5], v[144:145]
	v_add_f64_e32 v[4:5], v[110:111], v[88:89]
	;; [unrolled: 1-line block ×3, first 2 shown]
	s_delay_alu instid0(VALU_DEP_3) | instskip(NEXT) | instid1(VALU_DEP_3)
	v_fma_f64 v[144:145], v[144:145], s[16:17], v[12:13]
	v_add_f64_e32 v[140:141], v[96:97], v[4:5]
	v_add_f64_e32 v[4:5], v[108:109], v[90:91]
	s_delay_alu instid0(VALU_DEP_4) | instskip(NEXT) | instid1(VALU_DEP_2)
	v_fma_f64 v[146:147], v[146:147], s[16:17], v[14:15]
	v_add_f64_e32 v[142:143], v[98:99], v[4:5]
	ds_load_b128 v[4:7], v252 offset:816
	global_wb scope:SCOPE_SE
	s_wait_dscnt 0x0
	s_barrier_signal -1
	s_barrier_wait -1
	global_inv scope:SCOPE_SE
	ds_store_b128 v183, v[154:157]
	v_add_f64_e64 v[154:155], v[38:39], -v[0:1]
	v_add_f64_e64 v[156:157], v[24:25], -v[38:39]
	;; [unrolled: 1-line block ×3, first 2 shown]
	v_add_f64_e32 v[34:35], v[30:31], v[32:33]
	v_add_f64_e64 v[0:1], v[0:1], -v[24:25]
	v_add_f64_e64 v[28:29], v[20:21], -v[28:29]
	v_mul_f64_e32 v[20:21], s[14:15], v[166:167]
	v_add_f64_e64 v[30:31], v[22:23], -v[30:31]
	v_add_f64_e32 v[4:5], v[4:5], v[140:141]
	v_add_f64_e32 v[6:7], v[6:7], v[142:143]
	v_mul_f64_e32 v[32:33], s[2:3], v[156:157]
	v_mul_f64_e32 v[176:177], s[20:21], v[38:39]
	v_add_f64_e32 v[174:175], v[34:35], v[22:23]
	v_mul_f64_e32 v[22:23], s[14:15], v[170:171]
	v_mul_f64_e32 v[0:1], s[24:25], v[0:1]
	v_fma_f64 v[20:21], v[28:29], s[28:29], -v[20:21]
	v_mul_f64_e32 v[34:35], s[2:3], v[164:165]
	v_add_f64_e64 v[164:165], v[54:55], -v[56:57]
	v_fma_f64 v[140:141], v[140:141], s[16:17], v[4:5]
	v_fma_f64 v[142:143], v[142:143], s[16:17], v[6:7]
	v_fma_f64 v[32:33], v[154:155], s[18:19], -v[32:33]
	v_fma_f64 v[28:29], v[28:29], s[22:23], v[176:177]
	v_fma_f64 v[36:37], v[166:167], s[14:15], -v[176:177]
	v_fma_f64 v[22:23], v[30:31], s[28:29], -v[22:23]
	;; [unrolled: 1-line block ×3, first 2 shown]
	v_fma_f64 v[154:155], v[172:173], s[12:13], v[20:21]
	v_fma_f64 v[30:31], v[30:31], s[22:23], v[168:169]
	;; [unrolled: 1-line block ×3, first 2 shown]
	v_fma_f64 v[34:35], v[162:163], s[18:19], -v[34:35]
	v_add_f64_e64 v[166:167], v[56:57], -v[46:47]
	v_mul_f64_e32 v[164:165], s[20:21], v[164:165]
	v_add_f64_e32 v[178:179], v[32:33], v[158:159]
	v_fma_f64 v[156:157], v[172:173], s[12:13], v[28:29]
	v_fma_f64 v[38:39], v[172:173], s[12:13], v[36:37]
	;; [unrolled: 1-line block ×3, first 2 shown]
	v_add_f64_e32 v[24:25], v[24:25], v[158:159]
	v_add_f64_e64 v[22:23], v[26:27], -v[154:155]
	v_add_f64_e32 v[26:27], v[154:155], v[26:27]
	v_fma_f64 v[154:155], v[174:175], s[12:13], v[30:31]
	v_add_f64_e32 v[0:1], v[0:1], v[158:159]
	v_add_f64_e32 v[180:181], v[34:35], v[160:161]
	v_add_f64_e64 v[158:159], v[60:61], -v[42:43]
	v_add_f64_e64 v[160:161], v[50:51], -v[60:61]
	v_add_f64_e32 v[60:61], v[52:53], v[58:59]
	v_fma_f64 v[36:37], v[170:171], s[14:15], -v[168:169]
	v_add_f64_e64 v[42:43], v[42:43], -v[50:51]
	v_add_f64_e64 v[50:51], v[46:47], -v[54:55]
	;; [unrolled: 1-line block ×3, first 2 shown]
	v_add_f64_e32 v[156:157], v[156:157], v[2:3]
	v_add_f64_e64 v[2:3], v[48:49], -v[62:63]
	v_add_f64_e32 v[20:21], v[24:25], v[162:163]
	v_add_f64_e64 v[24:25], v[24:25], -v[162:163]
	v_add_f64_e64 v[162:163], v[58:59], -v[44:45]
	v_add_f64_e32 v[28:29], v[0:1], v[154:155]
	v_add_f64_e64 v[154:155], v[0:1], -v[154:155]
	v_add_f64_e64 v[0:1], v[62:63], -v[40:41]
	;; [unrolled: 1-line block ×3, first 2 shown]
	v_add_f64_e32 v[58:59], v[54:55], v[56:57]
	v_add_f64_e64 v[40:41], v[40:41], -v[48:49]
	v_add_f64_e64 v[48:49], v[44:45], -v[52:53]
	v_add_f64_e32 v[168:169], v[60:61], v[44:45]
	v_mul_f64_e32 v[54:55], s[24:25], v[42:43]
	v_fma_f64 v[36:37], v[174:175], s[12:13], v[36:37]
	v_add_f64_e32 v[34:35], v[38:39], v[180:181]
	v_add_f64_e64 v[38:39], v[180:181], -v[38:39]
	v_mul_f64_e32 v[56:57], s[2:3], v[2:3]
	v_mul_f64_e32 v[44:45], s[14:15], v[162:163]
	;; [unrolled: 1-line block ×3, first 2 shown]
	v_add_f64_e32 v[170:171], v[58:59], v[46:47]
	v_mul_f64_e32 v[46:47], s[14:15], v[166:167]
	v_mul_f64_e32 v[52:53], s[24:25], v[40:41]
	;; [unrolled: 1-line block ×3, first 2 shown]
	v_add_f64_e64 v[32:33], v[178:179], -v[36:37]
	v_add_f64_e32 v[36:37], v[178:179], v[36:37]
	ds_store_b128 v183, v[28:31] offset:16
	ds_store_b128 v183, v[20:23] offset:32
	;; [unrolled: 1-line block ×5, first 2 shown]
	v_fma_f64 v[56:57], v[0:1], s[18:19], -v[56:57]
	v_fma_f64 v[42:43], v[50:51], s[28:29], -v[46:47]
	v_fma_f64 v[0:1], v[0:1], s[26:27], -v[52:53]
	v_fma_f64 v[58:59], v[158:159], s[18:19], -v[58:59]
	v_fma_f64 v[40:41], v[48:49], s[28:29], -v[44:45]
	v_fma_f64 v[44:45], v[158:159], s[26:27], -v[54:55]
	v_fma_f64 v[60:61], v[162:163], s[14:15], -v[172:173]
	v_fma_f64 v[2:3], v[2:3], s[2:3], v[52:53]
	scratch_store_b32 off, v183, off offset:1336 ; 4-byte Folded Spill
	ds_store_b128 v183, v[154:157] offset:96
                                        ; implicit-def: $vgpr36_vgpr37
                                        ; implicit-def: $vgpr24_vgpr25
                                        ; implicit-def: $vgpr20_vgpr21
                                        ; implicit-def: $vgpr28_vgpr29
	v_add_f64_e32 v[174:175], v[56:57], v[148:149]
	v_fma_f64 v[158:159], v[170:171], s[12:13], v[42:43]
	v_add_f64_e32 v[0:1], v[0:1], v[148:149]
	v_add_f64_e32 v[176:177], v[58:59], v[150:151]
	v_fma_f64 v[46:47], v[168:169], s[12:13], v[40:41]
	v_add_f64_e32 v[162:163], v[44:45], v[150:151]
	v_fma_f64 v[62:63], v[168:169], s[12:13], v[60:61]
	v_add_f64_e32 v[2:3], v[2:3], v[148:149]
	v_add_f64_e64 v[148:149], v[84:85], -v[66:67]
	v_fma_f64 v[60:61], v[166:167], s[14:15], -v[164:165]
	v_add_f64_e64 v[66:67], v[66:67], -v[74:75]
	v_add_f64_e32 v[40:41], v[0:1], v[158:159]
	v_add_f64_e64 v[44:45], v[0:1], -v[158:159]
	v_fma_f64 v[0:1], v[48:49], s[22:23], v[172:173]
	v_fma_f64 v[48:49], v[50:51], s[22:23], v[164:165]
	;; [unrolled: 1-line block ×3, first 2 shown]
	v_add_f64_e64 v[42:43], v[162:163], -v[46:47]
	v_add_f64_e32 v[46:47], v[46:47], v[162:163]
	v_add_f64_e64 v[158:159], v[82:83], -v[68:69]
	v_add_f64_e64 v[162:163], v[80:81], -v[70:71]
	;; [unrolled: 1-line block ×3, first 2 shown]
	v_fma_f64 v[60:61], v[170:171], s[12:13], v[60:61]
	v_add_f64_e32 v[58:59], v[62:63], v[176:177]
	v_add_f64_e64 v[62:63], v[176:177], -v[62:63]
	v_fma_f64 v[0:1], v[168:169], s[12:13], v[0:1]
	v_fma_f64 v[52:53], v[170:171], s[12:13], v[48:49]
	v_add_f64_e32 v[54:55], v[50:51], v[150:151]
	v_add_f64_e64 v[150:151], v[74:75], -v[84:85]
	v_add_f64_e32 v[84:85], v[76:77], v[82:83]
	v_add_f64_e64 v[74:75], v[70:71], -v[78:79]
	v_mul_f64_e32 v[160:161], s[20:21], v[160:161]
	v_add_f64_e64 v[56:57], v[174:175], -v[60:61]
	v_add_f64_e32 v[60:61], v[174:175], v[60:61]
	v_add_f64_e32 v[48:49], v[2:3], v[52:53]
	v_add_f64_e64 v[50:51], v[54:55], -v[0:1]
	v_add_f64_e64 v[52:53], v[2:3], -v[52:53]
	v_add_f64_e32 v[54:55], v[0:1], v[54:55]
	v_add_f64_e64 v[0:1], v[86:87], -v[64:65]
	v_add_f64_e64 v[2:3], v[72:73], -v[86:87]
	;; [unrolled: 1-line block ×3, first 2 shown]
	v_add_f64_e32 v[82:83], v[78:79], v[80:81]
	v_add_f64_e64 v[64:65], v[64:65], -v[72:73]
	v_add_f64_e64 v[72:73], v[68:69], -v[76:77]
	v_add_f64_e32 v[164:165], v[84:85], v[68:69]
	v_mul_f64_e32 v[68:69], s[14:15], v[158:159]
	v_mul_f64_e32 v[78:79], s[24:25], v[66:67]
	;; [unrolled: 1-line block ×4, first 2 shown]
	v_add_f64_e32 v[166:167], v[82:83], v[70:71]
	v_mul_f64_e32 v[70:71], s[14:15], v[162:163]
	v_mul_f64_e32 v[76:77], s[24:25], v[64:65]
	v_mul_f64_e32 v[82:83], s[2:3], v[150:151]
	v_fma_f64 v[64:65], v[72:73], s[28:29], -v[68:69]
	v_fma_f64 v[68:69], v[148:149], s[26:27], -v[78:79]
	;; [unrolled: 1-line block ×7, first 2 shown]
	v_fma_f64 v[70:71], v[164:165], s[12:13], v[64:65]
	v_add_f64_e32 v[158:159], v[68:69], v[146:147]
	v_fma_f64 v[2:3], v[2:3], s[2:3], v[76:77]
	v_add_f64_e32 v[170:171], v[80:81], v[144:145]
	v_fma_f64 v[86:87], v[164:165], s[12:13], v[84:85]
	v_fma_f64 v[84:85], v[162:163], s[14:15], -v[160:161]
	v_fma_f64 v[148:149], v[166:167], s[12:13], v[66:67]
	v_add_f64_e32 v[0:1], v[0:1], v[144:145]
	v_add_f64_e32 v[172:173], v[82:83], v[146:147]
	v_add_f64_e64 v[66:67], v[158:159], -v[70:71]
	v_add_f64_e32 v[2:3], v[2:3], v[144:145]
	v_add_f64_e32 v[70:71], v[70:71], v[158:159]
	v_add_f64_e64 v[144:145], v[108:109], -v[90:91]
	v_add_f64_e64 v[158:159], v[104:105], -v[94:95]
	;; [unrolled: 1-line block ×3, first 2 shown]
	v_fma_f64 v[84:85], v[166:167], s[12:13], v[84:85]
	v_add_f64_e32 v[64:65], v[0:1], v[148:149]
	v_add_f64_e64 v[68:69], v[0:1], -v[148:149]
	v_fma_f64 v[0:1], v[72:73], s[22:23], v[168:169]
	v_fma_f64 v[72:73], v[74:75], s[22:23], v[160:161]
	;; [unrolled: 1-line block ×3, first 2 shown]
	v_add_f64_e64 v[148:149], v[106:107], -v[92:93]
	v_add_f64_e64 v[150:151], v[102:103], -v[104:105]
	v_add_f64_e32 v[82:83], v[86:87], v[172:173]
	v_add_f64_e64 v[86:87], v[172:173], -v[86:87]
	v_add_f64_e64 v[80:81], v[170:171], -v[84:85]
	v_add_f64_e32 v[84:85], v[170:171], v[84:85]
	v_fma_f64 v[0:1], v[164:165], s[12:13], v[0:1]
	v_fma_f64 v[76:77], v[166:167], s[12:13], v[72:73]
	v_add_f64_e32 v[78:79], v[74:75], v[146:147]
	v_add_f64_e64 v[146:147], v[98:99], -v[108:109]
	v_add_f64_e32 v[108:109], v[100:101], v[106:107]
	v_add_f64_e64 v[98:99], v[94:95], -v[102:103]
	v_mul_f64_e32 v[150:151], s[20:21], v[150:151]
	v_add_f64_e32 v[72:73], v[2:3], v[76:77]
	v_add_f64_e64 v[74:75], v[78:79], -v[0:1]
	v_add_f64_e64 v[76:77], v[2:3], -v[76:77]
	v_add_f64_e32 v[78:79], v[0:1], v[78:79]
	v_add_f64_e64 v[0:1], v[110:111], -v[88:89]
	v_add_f64_e64 v[2:3], v[96:97], -v[110:111]
	;; [unrolled: 1-line block ×3, first 2 shown]
	v_add_f64_e32 v[106:107], v[102:103], v[104:105]
	v_add_f64_e64 v[88:89], v[88:89], -v[96:97]
	v_add_f64_e64 v[96:97], v[92:93], -v[100:101]
	v_add_f64_e32 v[160:161], v[108:109], v[92:93]
	v_mul_f64_e32 v[92:93], s[14:15], v[148:149]
	v_mul_f64_e32 v[102:103], s[24:25], v[90:91]
	;; [unrolled: 1-line block ×4, first 2 shown]
	v_add_f64_e32 v[162:163], v[106:107], v[94:95]
	v_mul_f64_e32 v[94:95], s[14:15], v[158:159]
	v_mul_f64_e32 v[100:101], s[24:25], v[88:89]
	;; [unrolled: 1-line block ×3, first 2 shown]
	v_fma_f64 v[88:89], v[96:97], s[28:29], -v[92:93]
	v_fma_f64 v[92:93], v[144:145], s[26:27], -v[102:103]
	;; [unrolled: 1-line block ×7, first 2 shown]
	v_fma_f64 v[94:95], v[160:161], s[12:13], v[88:89]
	v_add_f64_e32 v[148:149], v[92:93], v[142:143]
	v_fma_f64 v[2:3], v[2:3], s[2:3], v[100:101]
	v_add_f64_e32 v[166:167], v[104:105], v[140:141]
	v_fma_f64 v[110:111], v[160:161], s[12:13], v[108:109]
	v_fma_f64 v[108:109], v[158:159], s[14:15], -v[150:151]
	v_fma_f64 v[144:145], v[162:163], s[12:13], v[90:91]
	v_add_f64_e32 v[0:1], v[0:1], v[140:141]
	v_add_f64_e32 v[168:169], v[106:107], v[142:143]
	v_add_f64_e64 v[90:91], v[148:149], -v[94:95]
	v_add_f64_e32 v[2:3], v[2:3], v[140:141]
	v_add_f64_e32 v[94:95], v[94:95], v[148:149]
	v_add_f64_e64 v[140:141], v[132:133], -v[114:115]
	v_add_f64_e64 v[148:149], v[128:129], -v[118:119]
	;; [unrolled: 1-line block ×3, first 2 shown]
	v_fma_f64 v[108:109], v[162:163], s[12:13], v[108:109]
	v_add_f64_e32 v[88:89], v[0:1], v[144:145]
	v_add_f64_e64 v[92:93], v[0:1], -v[144:145]
	v_fma_f64 v[0:1], v[96:97], s[22:23], v[164:165]
	v_fma_f64 v[96:97], v[98:99], s[22:23], v[150:151]
	;; [unrolled: 1-line block ×3, first 2 shown]
	v_add_f64_e64 v[144:145], v[130:131], -v[116:117]
	v_add_f64_e64 v[146:147], v[126:127], -v[128:129]
	v_add_f64_e32 v[106:107], v[110:111], v[168:169]
	v_add_f64_e64 v[110:111], v[168:169], -v[110:111]
	v_add_f64_e64 v[104:105], v[166:167], -v[108:109]
	v_add_f64_e32 v[108:109], v[166:167], v[108:109]
	v_fma_f64 v[0:1], v[160:161], s[12:13], v[0:1]
	v_fma_f64 v[100:101], v[162:163], s[12:13], v[96:97]
	v_add_f64_e32 v[102:103], v[98:99], v[142:143]
	v_add_f64_e64 v[142:143], v[122:123], -v[132:133]
	v_add_f64_e32 v[132:133], v[124:125], v[130:131]
	v_add_f64_e64 v[122:123], v[118:119], -v[126:127]
	v_mul_f64_e32 v[146:147], s[20:21], v[146:147]
	v_add_f64_e32 v[96:97], v[2:3], v[100:101]
	v_add_f64_e64 v[98:99], v[102:103], -v[0:1]
	v_add_f64_e64 v[100:101], v[2:3], -v[100:101]
	v_add_f64_e32 v[102:103], v[0:1], v[102:103]
	v_add_f64_e64 v[0:1], v[134:135], -v[112:113]
	v_add_f64_e64 v[2:3], v[120:121], -v[134:135]
	;; [unrolled: 1-line block ×3, first 2 shown]
	v_add_f64_e32 v[130:131], v[126:127], v[128:129]
	v_add_f64_e64 v[112:113], v[112:113], -v[120:121]
	v_add_f64_e64 v[120:121], v[116:117], -v[124:125]
	v_add_f64_e32 v[150:151], v[132:133], v[116:117]
	v_mul_f64_e32 v[116:117], s[14:15], v[144:145]
	v_mul_f64_e32 v[126:127], s[24:25], v[114:115]
	;; [unrolled: 1-line block ×4, first 2 shown]
	v_add_f64_e32 v[158:159], v[130:131], v[118:119]
	v_mul_f64_e32 v[118:119], s[14:15], v[148:149]
	v_mul_f64_e32 v[124:125], s[24:25], v[112:113]
	;; [unrolled: 1-line block ×3, first 2 shown]
	v_fma_f64 v[112:113], v[120:121], s[28:29], -v[116:117]
	v_fma_f64 v[116:117], v[140:141], s[26:27], -v[126:127]
	v_fma_f64 v[128:129], v[0:1], s[18:19], -v[128:129]
	v_fma_f64 v[132:133], v[144:145], s[14:15], -v[160:161]
	v_fma_f64 v[114:115], v[122:123], s[28:29], -v[118:119]
	v_fma_f64 v[0:1], v[0:1], s[26:27], -v[124:125]
	v_fma_f64 v[130:131], v[140:141], s[18:19], -v[130:131]
	v_fma_f64 v[118:119], v[150:151], s[12:13], v[112:113]
	v_add_f64_e32 v[144:145], v[116:117], v[138:139]
	v_fma_f64 v[2:3], v[2:3], s[2:3], v[124:125]
	v_add_f64_e32 v[162:163], v[128:129], v[136:137]
	v_fma_f64 v[134:135], v[150:151], s[12:13], v[132:133]
	v_fma_f64 v[132:133], v[148:149], s[14:15], -v[146:147]
	v_fma_f64 v[140:141], v[158:159], s[12:13], v[114:115]
	v_add_f64_e32 v[0:1], v[0:1], v[136:137]
	v_add_f64_e32 v[164:165], v[130:131], v[138:139]
	v_add_f64_e64 v[114:115], v[144:145], -v[118:119]
	v_add_f64_e32 v[2:3], v[2:3], v[136:137]
	v_add_f64_e32 v[118:119], v[118:119], v[144:145]
	v_fma_f64 v[132:133], v[158:159], s[12:13], v[132:133]
	v_add_f64_e32 v[112:113], v[0:1], v[140:141]
	v_add_f64_e64 v[116:117], v[0:1], -v[140:141]
	v_fma_f64 v[0:1], v[120:121], s[22:23], v[160:161]
	v_fma_f64 v[120:121], v[122:123], s[22:23], v[146:147]
	;; [unrolled: 1-line block ×3, first 2 shown]
	v_add_co_u32 v218, s2, v182, 17
	v_add_f64_e32 v[130:131], v[134:135], v[164:165]
	v_add_f64_e64 v[134:135], v[164:165], -v[134:135]
	v_add_f64_e64 v[128:129], v[162:163], -v[132:133]
	v_add_f64_e32 v[132:133], v[162:163], v[132:133]
	v_fma_f64 v[124:125], v[150:151], s[12:13], v[0:1]
	v_fma_f64 v[0:1], v[158:159], s[12:13], v[120:121]
	v_add_f64_e32 v[126:127], v[122:123], v[138:139]
	s_delay_alu instid0(VALU_DEP_2) | instskip(SKIP_2) | instid1(VALU_DEP_4)
	v_add_f64_e32 v[120:121], v[2:3], v[0:1]
	v_add_f64_e64 v[228:229], v[2:3], -v[0:1]
	v_mul_u32_u24_e32 v0, 7, v218
	v_add_f64_e32 v[230:231], v[124:125], v[126:127]
	v_add_f64_e64 v[122:123], v[126:127], -v[124:125]
	s_delay_alu instid0(VALU_DEP_3)
	v_lshl_add_u32 v0, v0, 4, v208
	ds_store_b128 v0, v[16:19]
	ds_store_b128 v0, v[48:51] offset:16
	ds_store_b128 v0, v[40:43] offset:32
	;; [unrolled: 1-line block ×5, first 2 shown]
	scratch_store_b32 off, v0, off offset:1620 ; 4-byte Folded Spill
	ds_store_b128 v0, v[52:55] offset:96
	v_mul_u32_u24_e32 v0, 7, v253
                                        ; implicit-def: $vgpr52_vgpr53
                                        ; implicit-def: $vgpr44_vgpr45
                                        ; implicit-def: $vgpr60_vgpr61
                                        ; implicit-def: $vgpr40_vgpr41
                                        ; implicit-def: $vgpr56_vgpr57
                                        ; implicit-def: $vgpr48_vgpr49
	s_delay_alu instid0(VALU_DEP_1)
	v_lshl_add_u32 v0, v0, 4, v208
	ds_store_b128 v0, v[12:15]
	ds_store_b128 v0, v[72:75] offset:16
	ds_store_b128 v0, v[64:67] offset:32
	;; [unrolled: 1-line block ×5, first 2 shown]
	scratch_store_b32 off, v0, off offset:1600 ; 4-byte Folded Spill
	ds_store_b128 v0, v[76:79] offset:96
	v_add_co_u32 v0, null, v182, 51
                                        ; implicit-def: $vgpr64_vgpr65
	scratch_store_b32 off, v0, off offset:1056 ; 4-byte Folded Spill
	v_mul_u32_u24_e32 v0, 7, v0
	s_delay_alu instid0(VALU_DEP_1)
	v_lshl_add_u32 v0, v0, 4, v208
	ds_store_b128 v0, v[4:7]
	ds_store_b128 v0, v[96:99] offset:16
	ds_store_b128 v0, v[88:91] offset:32
	;; [unrolled: 1-line block ×5, first 2 shown]
	scratch_store_b32 off, v0, off offset:1544 ; 4-byte Folded Spill
	ds_store_b128 v0, v[100:103] offset:96
	v_add_co_u32 v0, null, 0x44, v182
	s_clause 0x1
	scratch_store_b32 off, v182, off
	; meta instruction
	scratch_store_b32 off, v0, off offset:1104
	v_mul_u32_u24_e32 v0, 7, v0
	s_delay_alu instid0(VALU_DEP_1)
	v_lshl_add_u32 v1, v0, 4, v208
	s_wait_alu 0xf1ff
	v_add_co_ci_u32_e64 v0, null, 0, 0, s2
	v_add_co_u32 v2, s2, s8, v153
	s_wait_alu 0xf1ff
	v_add_co_ci_u32_e64 v3, null, s9, 0, s2
	ds_store_b128 v1, v[8:11]
	ds_store_b128 v1, v[120:123] offset:16
	ds_store_b128 v1, v[112:115] offset:32
	;; [unrolled: 1-line block ×5, first 2 shown]
	s_clause 0x1
	scratch_store_b64 off, v[2:3], off offset:1864
	scratch_store_b32 off, v1, off offset:1536
	ds_store_b128 v1, v[228:231] offset:96
	global_wb scope:SCOPE_SE
	s_wait_storecnt_dscnt 0x0
	s_barrier_signal -1
	s_barrier_wait -1
	global_inv scope:SCOPE_SE
	ds_load_b128 v[4:7], v252
	ds_load_b128 v[32:35], v252 offset:272
	ds_load_b128 v[88:91], v252 offset:560
	;; [unrolled: 1-line block ×33, first 2 shown]
                                        ; implicit-def: $vgpr120_vgpr121
                                        ; implicit-def: $vgpr116_vgpr117
                                        ; implicit-def: $vgpr112_vgpr113
                                        ; implicit-def: $vgpr8_vgpr9
	s_and_saveexec_b32 s2, vcc_lo
	s_cbranch_execz .LBB0_3
; %bb.2:
	ds_load_b128 v[228:231], v208 offset:544
	ds_load_b128 v[36:39], v208 offset:1104
	;; [unrolled: 1-line block ×17, first 2 shown]
.LBB0_3:
	s_wait_alu 0xfffe
	s_or_b32 exec_lo, exec_lo, s2
	scratch_load_b32 v2, off, off           ; 4-byte Folded Reload
	s_mov_b32 s24, 0x5d8e7cdc
	s_mov_b32 s40, 0x2a9d6da3
	;; [unrolled: 1-line block ×35, first 2 shown]
	s_wait_alu 0xfffe
	s_mov_b32 s50, s22
	s_mov_b32 s45, 0x3feca52d
	;; [unrolled: 1-line block ×13, first 2 shown]
	scratch_store_b32 off, v208, off offset:4 ; 4-byte Folded Spill
	s_wait_loadcnt 0x0
	v_and_b32_e32 v0, 0xff, v2
	s_delay_alu instid0(VALU_DEP_1) | instskip(NEXT) | instid1(VALU_DEP_1)
	v_mul_lo_u16 v0, v0, 37
	v_lshrrev_b16 v0, 8, v0
	s_delay_alu instid0(VALU_DEP_1) | instskip(NEXT) | instid1(VALU_DEP_1)
	v_sub_nc_u16 v1, v2, v0
	v_lshrrev_b16 v1, 1, v1
	s_delay_alu instid0(VALU_DEP_1) | instskip(NEXT) | instid1(VALU_DEP_1)
	v_and_b32_e32 v1, 0x7f, v1
	v_add_nc_u16 v0, v1, v0
	s_delay_alu instid0(VALU_DEP_1) | instskip(SKIP_2) | instid1(VALU_DEP_1)
	v_lshrrev_b16 v0, 2, v0
	scratch_store_b32 off, v0, off offset:1052 ; 4-byte Folded Spill
	v_mul_lo_u16 v0, v0, 7
	v_sub_nc_u16 v0, v2, v0
	s_delay_alu instid0(VALU_DEP_1)
	v_and_b32_e32 v0, 0xff, v0
	scratch_store_b32 off, v0, off offset:1088 ; 4-byte Folded Spill
	v_lshlrev_b32_e32 v0, 8, v0
	s_clause 0x1
	global_load_b128 v[209:212], v0, s[10:11]
	global_load_b128 v[214:217], v0, s[10:11] offset:16
	s_wait_loadcnt_dscnt 0x11f
	v_mul_f64_e32 v[176:177], v[90:91], v[211:212]
	scratch_store_b128 off, v[209:212], off offset:1552 ; 16-byte Folded Spill
	v_fma_f64 v[176:177], v[88:89], v[209:210], -v[176:177]
	v_mul_f64_e32 v[88:89], v[88:89], v[211:212]
	s_delay_alu instid0(VALU_DEP_1) | instskip(SKIP_2) | instid1(VALU_DEP_1)
	v_fma_f64 v[212:213], v[90:91], v[209:210], v[88:89]
	s_wait_loadcnt_dscnt 0x1d
	v_mul_f64_e32 v[88:89], v[94:95], v[216:217]
	v_fma_f64 v[234:235], v[92:93], v[214:215], -v[88:89]
	v_mul_f64_e32 v[88:89], v[92:93], v[216:217]
	global_load_b128 v[90:93], v0, s[10:11] offset:32
	v_fma_f64 v[240:241], v[94:95], v[214:215], v[88:89]
	s_wait_loadcnt_dscnt 0x1b
	v_mul_f64_e32 v[88:89], v[98:99], v[92:93]
	scratch_store_b128 off, v[90:93], off offset:1800 ; 16-byte Folded Spill
	v_fma_f64 v[210:211], v[96:97], v[90:91], -v[88:89]
	v_mul_f64_e32 v[88:89], v[96:97], v[92:93]
	global_load_b128 v[92:95], v0, s[10:11] offset:48
	v_fma_f64 v[254:255], v[98:99], v[90:91], v[88:89]
	s_wait_loadcnt_dscnt 0x19
	v_mul_f64_e32 v[88:89], v[106:107], v[94:95]
	v_mul_f64_e32 v[90:91], v[104:105], v[94:95]
	s_delay_alu instid0(VALU_DEP_2) | instskip(NEXT) | instid1(VALU_DEP_2)
	v_fma_f64 v[2:3], v[104:105], v[92:93], -v[88:89]
	v_fma_f64 v[178:179], v[106:107], v[92:93], v[90:91]
	global_load_b128 v[88:91], v0, s[10:11] offset:64
	scratch_store_b128 off, v[92:95], off offset:1816 ; 16-byte Folded Spill
	s_wait_loadcnt 0x0
	scratch_store_b128 off, v[88:91], off offset:1848 ; 16-byte Folded Spill
	s_wait_dscnt 0x17
	v_mul_f64_e32 v[92:93], v[102:103], v[90:91]
	v_mul_f64_e32 v[94:95], v[100:101], v[90:91]
	s_delay_alu instid0(VALU_DEP_2) | instskip(NEXT) | instid1(VALU_DEP_2)
	v_fma_f64 v[92:93], v[100:101], v[88:89], -v[92:93]
	v_fma_f64 v[94:95], v[102:103], v[88:89], v[94:95]
	s_clause 0x1
	global_load_b128 v[88:91], v0, s[10:11] offset:80
	global_load_b128 v[100:103], v0, s[10:11] offset:112
	s_wait_loadcnt_dscnt 0x115
	v_mul_f64_e32 v[96:97], v[86:87], v[90:91]
	scratch_store_b128 off, v[88:91], off offset:1832 ; 16-byte Folded Spill
	s_wait_loadcnt 0x0
	scratch_store_b128 off, v[100:103], off offset:1736 ; 16-byte Folded Spill
	v_fma_f64 v[96:97], v[84:85], v[88:89], -v[96:97]
	v_mul_f64_e32 v[84:85], v[84:85], v[90:91]
	s_delay_alu instid0(VALU_DEP_1)
	v_fma_f64 v[98:99], v[86:87], v[88:89], v[84:85]
	global_load_b128 v[86:89], v0, s[10:11] offset:96
	s_wait_loadcnt_dscnt 0x13
	v_mul_f64_e32 v[84:85], v[78:79], v[88:89]
	scratch_store_b128 off, v[86:89], off offset:1768 ; 16-byte Folded Spill
	v_fma_f64 v[90:91], v[76:77], v[86:87], -v[84:85]
	v_mul_f64_e32 v[76:77], v[76:77], v[88:89]
	s_delay_alu instid0(VALU_DEP_1) | instskip(SKIP_2) | instid1(VALU_DEP_1)
	v_fma_f64 v[88:89], v[78:79], v[86:87], v[76:77]
	s_wait_dscnt 0x11
	v_mul_f64_e32 v[76:77], v[70:71], v[102:103]
	v_fma_f64 v[86:87], v[68:69], v[100:101], -v[76:77]
	v_mul_f64_e32 v[68:69], v[68:69], v[102:103]
	s_delay_alu instid0(VALU_DEP_1)
	v_fma_f64 v[84:85], v[70:71], v[100:101], v[68:69]
	global_load_b128 v[100:103], v0, s[10:11] offset:128
	s_wait_loadcnt_dscnt 0xf
	v_mul_f64_e32 v[68:69], v[82:83], v[102:103]
	v_mul_f64_e32 v[70:71], v[80:81], v[102:103]
	scratch_store_b128 off, v[100:103], off offset:1704 ; 16-byte Folded Spill
	v_fma_f64 v[78:79], v[80:81], v[100:101], -v[68:69]
	v_fma_f64 v[76:77], v[82:83], v[100:101], v[70:71]
	s_clause 0x1
	global_load_b128 v[68:71], v0, s[10:11] offset:144
	global_load_b128 v[100:103], v0, s[10:11] offset:160
	s_wait_loadcnt_dscnt 0x10d
	v_mul_f64_e32 v[80:81], v[14:15], v[70:71]
	scratch_store_b128 off, v[68:71], off offset:1752 ; 16-byte Folded Spill
	v_fma_f64 v[80:81], v[12:13], v[68:69], -v[80:81]
	v_mul_f64_e32 v[12:13], v[12:13], v[70:71]
	s_delay_alu instid0(VALU_DEP_1) | instskip(SKIP_3) | instid1(VALU_DEP_2)
	v_fma_f64 v[82:83], v[14:15], v[68:69], v[12:13]
	s_wait_loadcnt_dscnt 0xb
	v_mul_f64_e32 v[12:13], v[202:203], v[102:103]
	v_mul_f64_e32 v[14:15], v[200:201], v[102:103]
	v_fma_f64 v[70:71], v[200:201], v[100:101], -v[12:13]
	s_delay_alu instid0(VALU_DEP_2)
	v_fma_f64 v[68:69], v[202:203], v[100:101], v[14:15]
	global_load_b128 v[12:15], v0, s[10:11] offset:176
	scratch_store_b128 off, v[100:103], off offset:1688 ; 16-byte Folded Spill
	s_wait_loadcnt 0x0
	scratch_store_b128 off, v[12:15], off offset:1656 ; 16-byte Folded Spill
	s_wait_dscnt 0x9
	v_mul_f64_e32 v[100:101], v[206:207], v[14:15]
	s_delay_alu instid0(VALU_DEP_1) | instskip(SKIP_1) | instid1(VALU_DEP_1)
	v_fma_f64 v[200:201], v[204:205], v[12:13], -v[100:101]
	v_mul_f64_e32 v[100:101], v[204:205], v[14:15]
	v_fma_f64 v[202:203], v[206:207], v[12:13], v[100:101]
	global_load_b128 v[12:15], v0, s[10:11] offset:192
	s_wait_loadcnt_dscnt 0x7
	v_mul_f64_e32 v[100:101], v[74:75], v[14:15]
	scratch_store_b128 off, v[12:15], off offset:1672 ; 16-byte Folded Spill
	v_fma_f64 v[100:101], v[72:73], v[12:13], -v[100:101]
	v_mul_f64_e32 v[72:73], v[72:73], v[14:15]
	s_delay_alu instid0(VALU_DEP_1)
	v_fma_f64 v[102:103], v[74:75], v[12:13], v[72:73]
	global_load_b128 v[12:15], v0, s[10:11] offset:208
	s_wait_loadcnt_dscnt 0x5
	v_mul_f64_e32 v[72:73], v[186:187], v[14:15]
	v_mul_f64_e32 v[74:75], v[184:185], v[14:15]
	scratch_store_b128 off, v[12:15], off offset:1720 ; 16-byte Folded Spill
	v_fma_f64 v[72:73], v[184:185], v[12:13], -v[72:73]
	v_fma_f64 v[74:75], v[186:187], v[12:13], v[74:75]
	global_load_b128 v[12:15], v0, s[10:11] offset:224
	s_wait_loadcnt_dscnt 0x3
	v_mul_f64_e32 v[104:105], v[182:183], v[14:15]
	scratch_store_b128 off, v[12:15], off offset:1584 ; 16-byte Folded Spill
	v_fma_f64 v[184:185], v[180:181], v[12:13], -v[104:105]
	v_mul_f64_e32 v[104:105], v[180:181], v[14:15]
	s_delay_alu instid0(VALU_DEP_1) | instskip(SKIP_2) | instid1(VALU_DEP_1)
	v_fma_f64 v[186:187], v[182:183], v[12:13], v[104:105]
	global_load_b128 v[12:15], v0, s[10:11] offset:240
	v_and_b32_e32 v0, 0xff, v218
	v_mul_lo_u16 v0, v0, 37
	s_delay_alu instid0(VALU_DEP_1) | instskip(NEXT) | instid1(VALU_DEP_1)
	v_lshrrev_b16 v0, 8, v0
	v_sub_nc_u16 v1, v218, v0
	s_delay_alu instid0(VALU_DEP_1) | instskip(NEXT) | instid1(VALU_DEP_1)
	v_lshrrev_b16 v1, 1, v1
	v_and_b32_e32 v1, 0x7f, v1
	s_delay_alu instid0(VALU_DEP_1) | instskip(NEXT) | instid1(VALU_DEP_1)
	v_add_nc_u16 v0, v1, v0
	v_lshrrev_b16 v0, 2, v0
	scratch_store_b32 off, v0, off offset:1120 ; 4-byte Folded Spill
	v_mul_lo_u16 v0, v0, 7
	s_delay_alu instid0(VALU_DEP_1) | instskip(NEXT) | instid1(VALU_DEP_1)
	v_sub_nc_u16 v0, v218, v0
	v_and_b32_e32 v0, 0xff, v0
	scratch_store_b32 off, v0, off offset:1136 ; 4-byte Folded Spill
	v_lshlrev_b32_e32 v0, 8, v0
	s_wait_loadcnt_dscnt 0x1
	v_mul_f64_e32 v[104:105], v[190:191], v[14:15]
	scratch_store_b128 off, v[12:15], off offset:1568 ; 16-byte Folded Spill
	v_fma_f64 v[180:181], v[188:189], v[12:13], -v[104:105]
	v_mul_f64_e32 v[104:105], v[188:189], v[14:15]
	s_delay_alu instid0(VALU_DEP_1)
	v_fma_f64 v[182:183], v[190:191], v[12:13], v[104:105]
	global_load_b128 v[12:15], v0, s[10:11]
	s_wait_loadcnt 0x0
	v_mul_f64_e32 v[104:105], v[198:199], v[14:15]
	scratch_store_b128 off, v[12:15], off offset:1604 ; 16-byte Folded Spill
	v_fma_f64 v[204:205], v[196:197], v[12:13], -v[104:105]
	v_mul_f64_e32 v[104:105], v[196:197], v[14:15]
	s_delay_alu instid0(VALU_DEP_1) | instskip(SKIP_2) | instid1(VALU_DEP_1)
	v_fma_f64 v[206:207], v[198:199], v[12:13], v[104:105]
	global_load_b128 v[12:15], v0, s[10:11] offset:16
	v_add_f64_e64 v[198:199], v[84:85], -v[76:77]
	v_mul_f64_e32 v[220:221], s[38:39], v[198:199]
	s_wait_loadcnt 0x0
	v_mul_f64_e32 v[104:105], v[194:195], v[14:15]
	scratch_store_b128 off, v[12:15], off offset:1640 ; 16-byte Folded Spill
	v_fma_f64 v[190:191], v[192:193], v[12:13], -v[104:105]
	v_mul_f64_e32 v[104:105], v[192:193], v[14:15]
	s_delay_alu instid0(VALU_DEP_1)
	v_fma_f64 v[188:189], v[194:195], v[12:13], v[104:105]
	global_load_b128 v[12:15], v0, s[10:11] offset:32
	s_wait_loadcnt 0x0
	v_mul_f64_e32 v[104:105], v[18:19], v[14:15]
	scratch_store_b128 off, v[12:15], off offset:1624 ; 16-byte Folded Spill
	v_fma_f64 v[248:249], v[16:17], v[12:13], -v[104:105]
	v_mul_f64_e32 v[16:17], v[16:17], v[14:15]
	s_delay_alu instid0(VALU_DEP_1)
	v_fma_f64 v[250:251], v[18:19], v[12:13], v[16:17]
	global_load_b128 v[12:15], v0, s[10:11] offset:48
	s_wait_loadcnt 0x0
	v_mul_f64_e32 v[16:17], v[130:131], v[14:15]
	scratch_store_b128 off, v[12:15], off offset:1320 ; 16-byte Folded Spill
	v_fma_f64 v[16:17], v[128:129], v[12:13], -v[16:17]
	scratch_store_b64 off, v[16:17], off offset:16 ; 8-byte Folded Spill
	v_mul_f64_e32 v[16:17], v[128:129], v[14:15]
	s_delay_alu instid0(VALU_DEP_1)
	v_fma_f64 v[130:131], v[130:131], v[12:13], v[16:17]
	global_load_b128 v[12:15], v0, s[10:11] offset:64
	s_wait_loadcnt 0x0
	v_mul_f64_e32 v[16:17], v[134:135], v[14:15]
	scratch_store_b128 off, v[12:15], off offset:1344 ; 16-byte Folded Spill
	v_fma_f64 v[16:17], v[132:133], v[12:13], -v[16:17]
	scratch_store_b64 off, v[16:17], off offset:32 ; 8-byte Folded Spill
	v_mul_f64_e32 v[16:17], v[132:133], v[14:15]
	s_delay_alu instid0(VALU_DEP_1)
	v_fma_f64 v[12:13], v[134:135], v[12:13], v[16:17]
	s_clause 0x1
	scratch_store_b128 off, v[214:217], off offset:1784
	scratch_store_b64 off, v[12:13], off offset:48
	global_load_b128 v[12:15], v0, s[10:11] offset:80
	s_wait_loadcnt 0x0
	v_mul_f64_e32 v[16:17], v[138:139], v[14:15]
	scratch_store_b128 off, v[12:15], off offset:1360 ; 16-byte Folded Spill
	v_fma_f64 v[16:17], v[136:137], v[12:13], -v[16:17]
	scratch_store_b64 off, v[16:17], off offset:64 ; 8-byte Folded Spill
	v_mul_f64_e32 v[16:17], v[136:137], v[14:15]
	s_delay_alu instid0(VALU_DEP_1)
	v_fma_f64 v[12:13], v[138:139], v[12:13], v[16:17]
	scratch_store_b64 off, v[12:13], off offset:80 ; 8-byte Folded Spill
	global_load_b128 v[12:15], v0, s[10:11] offset:96
	s_wait_loadcnt 0x0
	v_mul_f64_e32 v[16:17], v[142:143], v[14:15]
	scratch_store_b128 off, v[12:15], off offset:1376 ; 16-byte Folded Spill
	v_fma_f64 v[16:17], v[140:141], v[12:13], -v[16:17]
	scratch_store_b64 off, v[16:17], off offset:96 ; 8-byte Folded Spill
	v_mul_f64_e32 v[16:17], v[140:141], v[14:15]
	s_delay_alu instid0(VALU_DEP_1)
	v_fma_f64 v[12:13], v[142:143], v[12:13], v[16:17]
	scratch_store_b64 off, v[12:13], off offset:112 ; 8-byte Folded Spill
	;; [unrolled: 10-line block ×6, first 2 shown]
	global_load_b128 v[12:15], v0, s[10:11] offset:176
	s_wait_loadcnt 0x0
	v_mul_f64_e32 v[16:17], v[162:163], v[14:15]
	scratch_store_b128 off, v[12:15], off offset:1440 ; 16-byte Folded Spill
	v_fma_f64 v[244:245], v[160:161], v[12:13], -v[16:17]
	v_mul_f64_e32 v[16:17], v[160:161], v[14:15]
	s_delay_alu instid0(VALU_DEP_1)
	v_fma_f64 v[246:247], v[162:163], v[12:13], v[16:17]
	global_load_b128 v[12:15], v0, s[10:11] offset:192
	s_wait_loadcnt 0x0
	v_mul_f64_e32 v[16:17], v[174:175], v[14:15]
	scratch_store_b128 off, v[12:15], off offset:1472 ; 16-byte Folded Spill
	v_fma_f64 v[238:239], v[172:173], v[12:13], -v[16:17]
	v_mul_f64_e32 v[16:17], v[172:173], v[14:15]
	s_delay_alu instid0(VALU_DEP_1)
	v_fma_f64 v[236:237], v[174:175], v[12:13], v[16:17]
	;; [unrolled: 8-line block ×3, first 2 shown]
	global_load_b128 v[12:15], v0, s[10:11] offset:224
	s_wait_loadcnt 0x0
	v_mul_f64_e32 v[18:19], v[166:167], v[14:15]
	scratch_store_b128 off, v[12:15], off offset:1504 ; 16-byte Folded Spill
	v_fma_f64 v[134:135], v[164:165], v[12:13], -v[18:19]
	v_mul_f64_e32 v[18:19], v[164:165], v[14:15]
	s_delay_alu instid0(VALU_DEP_1) | instskip(SKIP_2) | instid1(VALU_DEP_1)
	v_fma_f64 v[18:19], v[166:167], v[12:13], v[18:19]
	global_load_b128 v[12:15], v0, s[10:11] offset:240
	v_and_b32_e32 v0, 0xff, v253
	v_mul_lo_u16 v0, v0, 37
	s_delay_alu instid0(VALU_DEP_1) | instskip(NEXT) | instid1(VALU_DEP_1)
	v_lshrrev_b16 v0, 8, v0
	v_sub_nc_u16 v1, v253, v0
	s_delay_alu instid0(VALU_DEP_1) | instskip(NEXT) | instid1(VALU_DEP_1)
	v_lshrrev_b16 v1, 1, v1
	v_and_b32_e32 v1, 0x7f, v1
	s_delay_alu instid0(VALU_DEP_1) | instskip(NEXT) | instid1(VALU_DEP_1)
	v_add_nc_u16 v0, v1, v0
	v_lshrrev_b16 v0, 2, v0
	s_delay_alu instid0(VALU_DEP_1) | instskip(NEXT) | instid1(VALU_DEP_1)
	v_mul_lo_u16 v0, v0, 7
	v_sub_nc_u16 v0, v253, v0
	scratch_store_b32 off, v0, off offset:1152 ; 4-byte Folded Spill
	v_lshlrev_b16 v0, 4, v0
	s_delay_alu instid0(VALU_DEP_1) | instskip(NEXT) | instid1(VALU_DEP_1)
	v_and_b32_e32 v0, 0xf0, v0
	v_lshlrev_b32_e32 v0, 4, v0
	s_wait_loadcnt_dscnt 0x0
	v_mul_f64_e32 v[104:105], v[126:127], v[14:15]
	scratch_store_b128 off, v[12:15], off offset:1488 ; 16-byte Folded Spill
	v_fma_f64 v[136:137], v[124:125], v[12:13], -v[104:105]
	v_mul_f64_e32 v[104:105], v[124:125], v[14:15]
	s_delay_alu instid0(VALU_DEP_1)
	v_fma_f64 v[124:125], v[126:127], v[12:13], v[104:105]
	global_load_b128 v[12:15], v0, s[10:11]
	s_wait_loadcnt 0x0
	v_mul_f64_e32 v[104:105], v[38:39], v[14:15]
	scratch_store_b128 off, v[12:15], off offset:2144 ; 16-byte Folded Spill
	v_fma_f64 v[104:105], v[36:37], v[12:13], -v[104:105]
	v_mul_f64_e32 v[36:37], v[36:37], v[14:15]
	s_delay_alu instid0(VALU_DEP_1)
	v_fma_f64 v[12:13], v[38:39], v[12:13], v[36:37]
	s_clause 0x1
	scratch_store_b32 off, v218, off offset:1072
	scratch_store_b64 off, v[12:13], off offset:8
	global_load_b128 v[12:15], v0, s[10:11] offset:16
	s_wait_loadcnt 0x0
	v_mul_f64_e32 v[36:37], v[54:55], v[14:15]
	scratch_store_b128 off, v[12:15], off offset:2064 ; 16-byte Folded Spill
	v_fma_f64 v[36:37], v[52:53], v[12:13], -v[36:37]
	scratch_store_b64 off, v[36:37], off offset:2008 ; 8-byte Folded Spill
	v_mul_f64_e32 v[36:37], v[52:53], v[14:15]
	s_delay_alu instid0(VALU_DEP_1)
	v_fma_f64 v[12:13], v[54:55], v[12:13], v[36:37]
	scratch_store_b64 off, v[12:13], off offset:2024 ; 8-byte Folded Spill
	global_load_b128 v[12:15], v0, s[10:11] offset:32
	s_wait_loadcnt 0x0
	v_mul_f64_e32 v[36:37], v[110:111], v[14:15]
	scratch_store_b128 off, v[12:15], off offset:2112 ; 16-byte Folded Spill
	v_fma_f64 v[36:37], v[108:109], v[12:13], -v[36:37]
	scratch_store_b64 off, v[36:37], off offset:288 ; 8-byte Folded Spill
	v_mul_f64_e32 v[36:37], v[108:109], v[14:15]
	s_delay_alu instid0(VALU_DEP_1)
	v_fma_f64 v[12:13], v[110:111], v[12:13], v[36:37]
	scratch_store_b64 off, v[12:13], off offset:272 ; 8-byte Folded Spill
	;; [unrolled: 10-line block ×3, first 2 shown]
	global_load_b128 v[12:15], v0, s[10:11] offset:64
	s_wait_loadcnt 0x0
	v_mul_f64_e32 v[36:37], v[26:27], v[14:15]
	scratch_store_b128 off, v[12:15], off offset:2160 ; 16-byte Folded Spill
	v_fma_f64 v[128:129], v[24:25], v[12:13], -v[36:37]
	v_mul_f64_e32 v[24:25], v[24:25], v[14:15]
	v_add_f64_e32 v[36:37], v[176:177], v[180:181]
	s_delay_alu instid0(VALU_DEP_2)
	v_fma_f64 v[12:13], v[26:27], v[12:13], v[24:25]
	scratch_store_b64 off, v[12:13], off offset:1872 ; 8-byte Folded Spill
	global_load_b128 v[12:15], v0, s[10:11] offset:80
	s_wait_loadcnt 0x0
	v_mul_f64_e32 v[24:25], v[46:47], v[14:15]
	scratch_store_b128 off, v[12:15], off offset:2176 ; 16-byte Folded Spill
	v_fma_f64 v[24:25], v[44:45], v[12:13], -v[24:25]
	scratch_store_b64 off, v[24:25], off offset:1264 ; 8-byte Folded Spill
	v_mul_f64_e32 v[24:25], v[44:45], v[14:15]
	s_delay_alu instid0(VALU_DEP_1)
	v_fma_f64 v[12:13], v[46:47], v[12:13], v[24:25]
	scratch_store_b64 off, v[12:13], off offset:1280 ; 8-byte Folded Spill
	global_load_b128 v[12:15], v0, s[10:11] offset:96
	s_wait_loadcnt 0x0
	v_mul_f64_e32 v[24:25], v[62:63], v[14:15]
	scratch_store_b128 off, v[12:15], off offset:2192 ; 16-byte Folded Spill
	v_fma_f64 v[24:25], v[60:61], v[12:13], -v[24:25]
	scratch_store_b64 off, v[24:25], off offset:1200 ; 8-byte Folded Spill
	v_mul_f64_e32 v[24:25], v[60:61], v[14:15]
	s_delay_alu instid0(VALU_DEP_1)
	;; [unrolled: 10-line block ×3, first 2 shown]
	v_fma_f64 v[12:13], v[118:119], v[12:13], v[24:25]
	scratch_store_b64 off, v[12:13], off offset:2016 ; 8-byte Folded Spill
	global_load_b128 v[12:15], v0, s[10:11] offset:128
	s_wait_loadcnt 0x0
	v_mul_f64_e32 v[24:25], v[22:23], v[14:15]
	scratch_store_b128 off, v[12:15], off offset:2240 ; 16-byte Folded Spill
	v_fma_f64 v[24:25], v[20:21], v[12:13], -v[24:25]
	v_mul_f64_e32 v[20:21], v[20:21], v[14:15]
	s_delay_alu instid0(VALU_DEP_1)
	v_fma_f64 v[242:243], v[22:23], v[12:13], v[20:21]
	global_load_b128 v[12:15], v0, s[10:11] offset:144
	s_wait_loadcnt 0x0
	v_mul_f64_e32 v[20:21], v[42:43], v[14:15]
	scratch_store_b128 off, v[12:15], off offset:2288 ; 16-byte Folded Spill
	v_fma_f64 v[20:21], v[40:41], v[12:13], -v[20:21]
	scratch_store_b64 off, v[20:21], off offset:1232 ; 8-byte Folded Spill
	v_mul_f64_e32 v[20:21], v[40:41], v[14:15]
	s_delay_alu instid0(VALU_DEP_1)
	v_fma_f64 v[12:13], v[42:43], v[12:13], v[20:21]
	scratch_store_b64 off, v[12:13], off offset:1248 ; 8-byte Folded Spill
	global_load_b128 v[12:15], v0, s[10:11] offset:160
	s_wait_loadcnt 0x0
	v_mul_f64_e32 v[20:21], v[58:59], v[14:15]
	scratch_store_b128 off, v[12:15], off offset:2272 ; 16-byte Folded Spill
	v_fma_f64 v[20:21], v[56:57], v[12:13], -v[20:21]
	scratch_store_b64 off, v[20:21], off offset:2056 ; 8-byte Folded Spill
	v_mul_f64_e32 v[20:21], v[56:57], v[14:15]
	s_delay_alu instid0(VALU_DEP_1)
	v_fma_f64 v[12:13], v[58:59], v[12:13], v[20:21]
	scratch_store_b64 off, v[12:13], off offset:1296 ; 8-byte Folded Spill
	global_load_b128 v[12:15], v0, s[10:11] offset:176
	s_wait_loadcnt 0x0
	v_mul_f64_e32 v[20:21], v[114:115], v[14:15]
	scratch_store_b128 off, v[12:15], off offset:2224 ; 16-byte Folded Spill
	v_fma_f64 v[20:21], v[112:113], v[12:13], -v[20:21]
	s_clause 0x1
	scratch_store_b64 off, v[24:25], off offset:1184
	scratch_store_b64 off, v[20:21], off offset:336
	v_mul_f64_e32 v[20:21], v[112:113], v[14:15]
	s_delay_alu instid0(VALU_DEP_1)
	v_fma_f64 v[12:13], v[114:115], v[12:13], v[20:21]
	scratch_store_b64 off, v[12:13], off offset:1896 ; 8-byte Folded Spill
	global_load_b128 v[12:15], v0, s[10:11] offset:192
	s_wait_loadcnt 0x0
	v_mul_f64_e32 v[20:21], v[10:11], v[14:15]
	scratch_store_b128 off, v[12:15], off offset:2256 ; 16-byte Folded Spill
	v_fma_f64 v[20:21], v[8:9], v[12:13], -v[20:21]
	v_mul_f64_e32 v[8:9], v[8:9], v[14:15]
	s_delay_alu instid0(VALU_DEP_1)
	v_fma_f64 v[8:9], v[10:11], v[12:13], v[8:9]
	global_load_b128 v[10:13], v0, s[10:11] offset:208
	s_clause 0x1
	scratch_store_b64 off, v[20:21], off offset:352
	scratch_store_b64 off, v[8:9], off offset:368
	s_wait_loadcnt 0x0
	v_mul_f64_e32 v[8:9], v[30:31], v[12:13]
	scratch_store_b128 off, v[10:13], off offset:2096 ; 16-byte Folded Spill
	v_fma_f64 v[8:9], v[28:29], v[10:11], -v[8:9]
	scratch_store_b64 off, v[8:9], off offset:384 ; 8-byte Folded Spill
	v_mul_f64_e32 v[8:9], v[28:29], v[12:13]
	s_delay_alu instid0(VALU_DEP_1)
	v_fma_f64 v[8:9], v[30:31], v[10:11], v[8:9]
	global_load_b128 v[10:13], v0, s[10:11] offset:224
	scratch_store_b64 off, v[8:9], off offset:400 ; 8-byte Folded Spill
	s_wait_loadcnt 0x0
	scratch_store_b128 off, v[10:13], off offset:2080 ; 16-byte Folded Spill
	v_mul_f64_e32 v[8:9], v[50:51], v[12:13]
	s_delay_alu instid0(VALU_DEP_1) | instskip(SKIP_2) | instid1(VALU_DEP_1)
	v_fma_f64 v[8:9], v[48:49], v[10:11], -v[8:9]
	scratch_store_b64 off, v[8:9], off offset:416 ; 8-byte Folded Spill
	v_mul_f64_e32 v[8:9], v[48:49], v[12:13]
	v_fma_f64 v[8:9], v[50:51], v[10:11], v[8:9]
	global_load_b128 v[10:13], v0, s[10:11] offset:240
	scratch_store_b64 off, v[8:9], off offset:432 ; 8-byte Folded Spill
	s_wait_loadcnt 0x0
	scratch_store_b128 off, v[10:13], off offset:2304 ; 16-byte Folded Spill
	v_mul_f64_e32 v[8:9], v[66:67], v[12:13]
	s_delay_alu instid0(VALU_DEP_1)
	v_fma_f64 v[0:1], v[64:65], v[10:11], -v[8:9]
	v_mul_f64_e32 v[8:9], v[64:65], v[12:13]
	scratch_store_b64 off, v[0:1], off offset:448 ; 8-byte Folded Spill
	v_fma_f64 v[0:1], v[66:67], v[10:11], v[8:9]
	v_add_f64_e64 v[8:9], v[212:213], -v[182:183]
	scratch_store_b64 off, v[0:1], off offset:464 ; 8-byte Folded Spill
	v_mul_f64_e32 v[10:11], s[24:25], v[8:9]
	v_mul_f64_e32 v[20:21], s[40:41], v[8:9]
	;; [unrolled: 1-line block ×8, first 2 shown]
	v_add_f64_e32 v[0:1], v[4:5], v[176:177]
	v_fma_f64 v[38:39], v[36:37], s[2:3], -v[10:11]
	v_fma_f64 v[40:41], v[36:37], s[2:3], v[10:11]
	v_fma_f64 v[42:43], v[36:37], s[12:13], -v[20:21]
	v_fma_f64 v[44:45], v[36:37], s[12:13], v[20:21]
	;; [unrolled: 2-line block ×4, first 2 shown]
	scratch_store_b64 off, v[0:1], off offset:2040 ; 8-byte Folded Spill
	v_add_f64_e32 v[0:1], v[6:7], v[212:213]
	v_fma_f64 v[52:53], v[36:37], s[16:17], v[24:25]
	v_fma_f64 v[54:55], v[36:37], s[18:19], -v[26:27]
	v_fma_f64 v[56:57], v[36:37], s[18:19], v[26:27]
	v_fma_f64 v[58:59], v[36:37], s[20:21], -v[28:29]
	;; [unrolled: 2-line block ×3, first 2 shown]
	v_fma_f64 v[64:65], v[36:37], s[26:27], v[30:31]
	v_add_f64_e32 v[150:151], v[4:5], v[38:39]
	v_add_f64_e32 v[194:195], v[4:5], v[40:41]
	;; [unrolled: 1-line block ×3, first 2 shown]
	scratch_store_b64 off, v[0:1], off offset:2048 ; 8-byte Folded Spill
	v_add_f64_e32 v[0:1], v[4:5], v[106:107]
	scratch_store_b64 off, v[104:105], off offset:2000 ; 8-byte Folded Spill
	v_fma_f64 v[104:105], v[36:37], s[30:31], -v[8:9]
	v_add_f64_e64 v[8:9], v[176:177], -v[180:181]
	v_add_f64_e32 v[36:37], v[212:213], v[182:183]
	v_add_f64_e32 v[38:39], v[4:5], v[52:53]
	v_add_f64_e64 v[176:177], v[94:95], -v[202:203]
	v_add_f64_e64 v[212:213], v[92:93], -v[200:201]
	v_add_f64_e32 v[62:63], v[4:5], v[62:63]
	scratch_store_b64 off, v[0:1], off offset:256 ; 8-byte Folded Spill
	v_mul_f64_e32 v[22:23], s[42:43], v[8:9]
	v_mul_f64_e32 v[20:21], s[40:41], v[8:9]
	;; [unrolled: 1-line block ×8, first 2 shown]
	v_fma_f64 v[116:117], v[36:37], s[14:15], -v[22:23]
	v_fma_f64 v[110:111], v[36:37], s[12:13], v[20:21]
	v_fma_f64 v[112:113], v[36:37], s[12:13], -v[20:21]
	v_fma_f64 v[118:119], v[36:37], s[16:17], v[24:25]
	;; [unrolled: 2-line block ×3, first 2 shown]
	v_fma_f64 v[122:123], v[36:37], s[18:19], v[26:27]
	v_fma_f64 v[66:67], v[36:37], s[2:3], v[10:11]
	v_fma_f64 v[126:127], v[36:37], s[18:19], -v[26:27]
	v_fma_f64 v[138:139], v[36:37], s[20:21], v[28:29]
	v_fma_f64 v[140:141], v[36:37], s[20:21], -v[28:29]
	v_fma_f64 v[108:109], v[36:37], s[2:3], -v[10:11]
	v_fma_f64 v[142:143], v[36:37], s[26:27], v[30:31]
	v_fma_f64 v[144:145], v[36:37], s[26:27], -v[30:31]
	v_fma_f64 v[146:147], v[36:37], s[30:31], v[8:9]
	v_fma_f64 v[148:149], v[36:37], s[30:31], -v[8:9]
	v_add_f64_e32 v[26:27], v[4:5], v[48:49]
	v_add_f64_e32 v[22:23], v[4:5], v[42:43]
	;; [unrolled: 1-line block ×9, first 2 shown]
	v_add_f64_e64 v[116:117], v[240:241], -v[186:187]
	v_add_f64_e32 v[20:21], v[6:7], v[110:111]
	v_add_f64_e32 v[164:165], v[6:7], v[112:113]
	;; [unrolled: 1-line block ×5, first 2 shown]
	v_add_f64_e64 v[118:119], v[234:235], -v[184:185]
	v_add_f64_e32 v[28:29], v[6:7], v[114:115]
	v_add_f64_e32 v[44:45], v[6:7], v[122:123]
	;; [unrolled: 1-line block ×6, first 2 shown]
	v_add_f64_e64 v[126:127], v[254:255], -v[74:75]
	v_add_f64_e32 v[56:57], v[6:7], v[140:141]
	v_add_f64_e32 v[52:53], v[6:7], v[138:139]
	;; [unrolled: 1-line block ×8, first 2 shown]
	v_mul_f64_e32 v[6:7], s[22:23], v[176:177]
	v_mul_f64_e32 v[4:5], s[22:23], v[212:213]
	;; [unrolled: 1-line block ×4, first 2 shown]
	scratch_store_b64 off, v[0:1], off offset:2032 ; 8-byte Folded Spill
	v_fma_f64 v[106:107], v[112:113], s[12:13], -v[104:105]
	v_fma_f64 v[104:105], v[112:113], s[12:13], v[104:105]
	s_delay_alu instid0(VALU_DEP_2) | instskip(SKIP_1) | instid1(VALU_DEP_3)
	v_add_f64_e32 v[122:123], v[106:107], v[150:151]
	v_mul_f64_e32 v[106:107], s[40:41], v[118:119]
	v_add_f64_e32 v[104:105], v[104:105], v[194:195]
	s_delay_alu instid0(VALU_DEP_2) | instskip(SKIP_1) | instid1(VALU_DEP_2)
	v_fma_f64 v[120:121], v[114:115], s[12:13], v[106:107]
	v_fma_f64 v[106:107], v[114:115], s[12:13], -v[106:107]
	v_add_f64_e32 v[140:141], v[120:121], v[152:153]
	v_add_f64_e32 v[120:121], v[210:211], v[72:73]
	s_delay_alu instid0(VALU_DEP_3) | instskip(SKIP_1) | instid1(VALU_DEP_3)
	v_add_f64_e32 v[106:107], v[106:107], v[192:193]
	v_mul_f64_e32 v[192:193], s[54:55], v[212:213]
	v_fma_f64 v[138:139], v[120:121], s[14:15], -v[14:15]
	v_fma_f64 v[14:15], v[120:121], s[14:15], v[14:15]
	s_delay_alu instid0(VALU_DEP_2) | instskip(SKIP_2) | instid1(VALU_DEP_4)
	v_add_f64_e32 v[142:143], v[138:139], v[122:123]
	v_add_f64_e64 v[138:139], v[210:211], -v[72:73]
	v_add_f64_e32 v[122:123], v[254:255], v[74:75]
	v_add_f64_e32 v[14:15], v[14:15], v[104:105]
	s_delay_alu instid0(VALU_DEP_3) | instskip(NEXT) | instid1(VALU_DEP_1)
	v_mul_f64_e32 v[12:13], s[42:43], v[138:139]
	v_fma_f64 v[144:145], v[122:123], s[14:15], v[12:13]
	v_fma_f64 v[12:13], v[122:123], s[14:15], -v[12:13]
	s_delay_alu instid0(VALU_DEP_2) | instskip(SKIP_2) | instid1(VALU_DEP_4)
	v_add_f64_e32 v[148:149], v[144:145], v[140:141]
	v_add_f64_e64 v[144:145], v[178:179], -v[102:103]
	v_add_f64_e32 v[140:141], v[2:3], v[100:101]
	v_add_f64_e32 v[12:13], v[12:13], v[106:107]
	v_mul_f64_e32 v[106:107], s[54:55], v[176:177]
	s_delay_alu instid0(VALU_DEP_4) | instskip(NEXT) | instid1(VALU_DEP_1)
	v_mul_f64_e32 v[10:11], s[36:37], v[144:145]
	v_fma_f64 v[146:147], v[140:141], s[16:17], -v[10:11]
	v_fma_f64 v[10:11], v[140:141], s[16:17], v[10:11]
	s_delay_alu instid0(VALU_DEP_2) | instskip(SKIP_2) | instid1(VALU_DEP_4)
	v_add_f64_e32 v[150:151], v[146:147], v[142:143]
	v_add_f64_e64 v[146:147], v[2:3], -v[100:101]
	v_add_f64_e32 v[142:143], v[178:179], v[102:103]
	v_add_f64_e32 v[10:11], v[10:11], v[14:15]
	s_delay_alu instid0(VALU_DEP_3) | instskip(SKIP_1) | instid1(VALU_DEP_2)
	v_mul_f64_e32 v[8:9], s[36:37], v[146:147]
	v_mul_f64_e32 v[104:105], s[38:39], v[146:147]
	v_fma_f64 v[152:153], v[142:143], s[16:17], v[8:9]
	v_fma_f64 v[8:9], v[142:143], s[16:17], -v[8:9]
	s_delay_alu instid0(VALU_DEP_2) | instskip(SKIP_1) | instid1(VALU_DEP_3)
	v_add_f64_e32 v[152:153], v[152:153], v[148:149]
	v_add_f64_e32 v[148:149], v[92:93], v[200:201]
	;; [unrolled: 1-line block ×3, first 2 shown]
	s_delay_alu instid0(VALU_DEP_2) | instskip(SKIP_1) | instid1(VALU_DEP_2)
	v_fma_f64 v[154:155], v[148:149], s[18:19], -v[6:7]
	v_fma_f64 v[6:7], v[148:149], s[18:19], v[6:7]
	v_add_f64_e32 v[154:155], v[154:155], v[150:151]
	v_add_f64_e32 v[150:151], v[94:95], v[202:203]
	s_delay_alu instid0(VALU_DEP_3) | instskip(SKIP_1) | instid1(VALU_DEP_3)
	v_add_f64_e32 v[6:7], v[6:7], v[10:11]
	v_mul_f64_e32 v[10:11], s[28:29], v[126:127]
	v_fma_f64 v[156:157], v[150:151], s[18:19], v[4:5]
	v_fma_f64 v[4:5], v[150:151], s[18:19], -v[4:5]
	s_delay_alu instid0(VALU_DEP_3) | instskip(NEXT) | instid1(VALU_DEP_3)
	v_fma_f64 v[12:13], v[120:121], s[20:21], -v[10:11]
	v_add_f64_e32 v[160:161], v[156:157], v[152:153]
	v_add_f64_e64 v[156:157], v[98:99], -v[68:69]
	v_add_f64_e32 v[152:153], v[96:97], v[70:71]
	v_add_f64_e32 v[4:5], v[4:5], v[8:9]
	s_delay_alu instid0(VALU_DEP_3) | instskip(SKIP_1) | instid1(VALU_DEP_2)
	v_mul_f64_e32 v[0:1], s[28:29], v[156:157]
	v_mul_f64_e32 v[194:195], s[50:51], v[156:157]
	v_fma_f64 v[158:159], v[152:153], s[20:21], -v[0:1]
	v_fma_f64 v[0:1], v[152:153], s[20:21], v[0:1]
	s_delay_alu instid0(VALU_DEP_2) | instskip(SKIP_2) | instid1(VALU_DEP_4)
	v_add_f64_e32 v[162:163], v[158:159], v[154:155]
	v_add_f64_e64 v[158:159], v[96:97], -v[70:71]
	v_add_f64_e32 v[154:155], v[98:99], v[68:69]
	v_add_f64_e32 v[0:1], v[0:1], v[6:7]
	s_delay_alu instid0(VALU_DEP_3) | instskip(NEXT) | instid1(VALU_DEP_1)
	v_mul_f64_e32 v[208:209], s[28:29], v[158:159]
	v_fma_f64 v[168:169], v[154:155], s[20:21], v[208:209]
	v_fma_f64 v[6:7], v[154:155], s[20:21], -v[208:209]
	v_mul_f64_e32 v[208:209], s[50:51], v[158:159]
	s_delay_alu instid0(VALU_DEP_3) | instskip(SKIP_3) | instid1(VALU_DEP_3)
	v_add_f64_e32 v[172:173], v[168:169], v[160:161]
	v_add_f64_e64 v[168:169], v[88:89], -v[82:83]
	v_add_f64_e32 v[160:161], v[90:91], v[80:81]
	v_add_f64_e32 v[4:5], v[6:7], v[4:5]
	v_mul_f64_e32 v[214:215], s[34:35], v[168:169]
	s_delay_alu instid0(VALU_DEP_1) | instskip(SKIP_2) | instid1(VALU_DEP_3)
	v_fma_f64 v[170:171], v[160:161], s[26:27], -v[214:215]
	v_fma_f64 v[6:7], v[160:161], s[26:27], v[214:215]
	v_mul_f64_e32 v[214:215], s[44:45], v[168:169]
	v_add_f64_e32 v[174:175], v[170:171], v[162:163]
	v_add_f64_e64 v[170:171], v[90:91], -v[80:81]
	v_add_f64_e32 v[162:163], v[88:89], v[82:83]
	v_add_f64_e32 v[0:1], v[6:7], v[0:1]
	s_delay_alu instid0(VALU_DEP_3) | instskip(NEXT) | instid1(VALU_DEP_1)
	v_mul_f64_e32 v[216:217], s[34:35], v[170:171]
	v_fma_f64 v[196:197], v[162:163], s[26:27], v[216:217]
	v_fma_f64 v[6:7], v[162:163], s[26:27], -v[216:217]
	v_mul_f64_e32 v[216:217], s[44:45], v[170:171]
	s_delay_alu instid0(VALU_DEP_3) | instskip(SKIP_1) | instid1(VALU_DEP_4)
	v_add_f64_e32 v[218:219], v[196:197], v[172:173]
	v_add_f64_e32 v[172:173], v[86:87], v[78:79]
	v_add_f64_e32 v[4:5], v[6:7], v[4:5]
	s_delay_alu instid0(VALU_DEP_2) | instskip(SKIP_1) | instid1(VALU_DEP_2)
	v_fma_f64 v[196:197], v[172:173], s[30:31], -v[220:221]
	v_fma_f64 v[6:7], v[172:173], s[30:31], v[220:221]
	v_add_f64_e32 v[224:225], v[196:197], v[174:175]
	v_add_f64_e64 v[196:197], v[86:87], -v[78:79]
	v_add_f64_e32 v[174:175], v[84:85], v[76:77]
	s_delay_alu instid0(VALU_DEP_4) | instskip(SKIP_1) | instid1(VALU_DEP_4)
	v_add_f64_e32 v[6:7], v[6:7], v[0:1]
	v_mul_f64_e32 v[0:1], s[36:37], v[116:117]
	v_mul_f64_e32 v[222:223], s[38:39], v[196:197]
	s_delay_alu instid0(VALU_DEP_1) | instskip(SKIP_2) | instid1(VALU_DEP_3)
	v_fma_f64 v[232:233], v[174:175], s[30:31], v[222:223]
	v_fma_f64 v[8:9], v[174:175], s[30:31], -v[222:223]
	v_dual_mov_b32 v222, v129 :: v_dual_mov_b32 v221, v128
	v_add_f64_e32 v[226:227], v[232:233], v[218:219]
	s_delay_alu instid0(VALU_DEP_3)
	v_add_f64_e32 v[8:9], v[8:9], v[4:5]
	v_fma_f64 v[4:5], v[112:113], s[16:17], -v[0:1]
	v_mul_f64_e32 v[218:219], s[46:47], v[198:199]
	v_fma_f64 v[0:1], v[112:113], s[16:17], v[0:1]
	s_clause 0x1
	scratch_store_b128 off, v[224:227], off offset:1304
	scratch_store_b128 off, v[6:9], off offset:1880
	v_add_f64_e32 v[4:5], v[4:5], v[22:23]
	v_mul_f64_e32 v[6:7], s[36:37], v[118:119]
	v_add_f64_e32 v[0:1], v[0:1], v[166:167]
	v_mul_f64_e32 v[166:167], s[24:25], v[156:157]
	s_delay_alu instid0(VALU_DEP_4) | instskip(NEXT) | instid1(VALU_DEP_4)
	v_add_f64_e32 v[4:5], v[12:13], v[4:5]
	v_fma_f64 v[8:9], v[114:115], s[16:17], v[6:7]
	v_mul_f64_e32 v[12:13], s[28:29], v[138:139]
	v_fma_f64 v[6:7], v[114:115], s[16:17], -v[6:7]
	s_delay_alu instid0(VALU_DEP_3) | instskip(NEXT) | instid1(VALU_DEP_3)
	v_add_f64_e32 v[8:9], v[8:9], v[20:21]
	v_fma_f64 v[14:15], v[122:123], s[20:21], v[12:13]
	s_delay_alu instid0(VALU_DEP_3) | instskip(SKIP_1) | instid1(VALU_DEP_3)
	v_add_f64_e32 v[6:7], v[6:7], v[164:165]
	v_mul_f64_e32 v[164:165], s[48:49], v[212:213]
	v_add_f64_e32 v[8:9], v[14:15], v[8:9]
	v_mul_f64_e32 v[14:15], s[38:39], v[144:145]
	s_delay_alu instid0(VALU_DEP_1) | instskip(NEXT) | instid1(VALU_DEP_1)
	v_fma_f64 v[20:21], v[140:141], s[30:31], -v[14:15]
	v_add_f64_e32 v[4:5], v[20:21], v[4:5]
	v_fma_f64 v[20:21], v[142:143], s[30:31], v[104:105]
	s_delay_alu instid0(VALU_DEP_1) | instskip(SKIP_1) | instid1(VALU_DEP_1)
	v_add_f64_e32 v[8:9], v[20:21], v[8:9]
	v_fma_f64 v[20:21], v[148:149], s[26:27], -v[106:107]
	v_add_f64_e32 v[4:5], v[20:21], v[4:5]
	v_fma_f64 v[20:21], v[150:151], s[26:27], v[192:193]
	s_delay_alu instid0(VALU_DEP_1) | instskip(SKIP_1) | instid1(VALU_DEP_1)
	v_add_f64_e32 v[8:9], v[20:21], v[8:9]
	;; [unrolled: 5-line block ×4, first 2 shown]
	v_fma_f64 v[20:21], v[172:173], s[2:3], -v[218:219]
	v_add_f64_e32 v[20:21], v[20:21], v[4:5]
	v_mul_f64_e32 v[4:5], s[46:47], v[196:197]
	s_delay_alu instid0(VALU_DEP_1) | instskip(SKIP_1) | instid1(VALU_DEP_2)
	v_fma_f64 v[22:23], v[174:175], s[2:3], v[4:5]
	v_fma_f64 v[4:5], v[174:175], s[2:3], -v[4:5]
	v_add_f64_e32 v[22:23], v[22:23], v[8:9]
	v_fma_f64 v[8:9], v[120:121], s[20:21], v[10:11]
	scratch_store_b128 off, v[20:23], off offset:1920 ; 16-byte Folded Spill
	v_add_f64_e32 v[0:1], v[8:9], v[0:1]
	v_fma_f64 v[8:9], v[122:123], s[20:21], -v[12:13]
	s_delay_alu instid0(VALU_DEP_1) | instskip(SKIP_1) | instid1(VALU_DEP_1)
	v_add_f64_e32 v[6:7], v[8:9], v[6:7]
	v_fma_f64 v[8:9], v[140:141], s[30:31], v[14:15]
	v_add_f64_e32 v[0:1], v[8:9], v[0:1]
	v_fma_f64 v[8:9], v[142:143], s[30:31], -v[104:105]
	v_mul_f64_e32 v[104:105], s[50:51], v[146:147]
	s_delay_alu instid0(VALU_DEP_2) | instskip(SKIP_2) | instid1(VALU_DEP_2)
	v_add_f64_e32 v[6:7], v[8:9], v[6:7]
	v_fma_f64 v[8:9], v[148:149], s[26:27], v[106:107]
	v_mul_f64_e32 v[106:107], s[48:49], v[176:177]
	v_add_f64_e32 v[0:1], v[8:9], v[0:1]
	v_fma_f64 v[8:9], v[150:151], s[26:27], -v[192:193]
	v_mul_f64_e32 v[192:193], s[24:25], v[158:159]
	s_delay_alu instid0(VALU_DEP_2) | instskip(SKIP_2) | instid1(VALU_DEP_2)
	v_add_f64_e32 v[6:7], v[8:9], v[6:7]
	v_fma_f64 v[8:9], v[152:153], s[18:19], v[194:195]
	v_mul_f64_e32 v[194:195], s[36:37], v[168:169]
	;; [unrolled: 7-line block ×3, first 2 shown]
	v_add_f64_e32 v[0:1], v[8:9], v[0:1]
	v_fma_f64 v[8:9], v[162:163], s[14:15], -v[216:217]
	s_delay_alu instid0(VALU_DEP_1)
	v_add_f64_e32 v[6:7], v[8:9], v[6:7]
	v_fma_f64 v[8:9], v[172:173], s[2:3], v[218:219]
	s_clause 0x2
	scratch_load_b64 v[219:220], off, off offset:8
	scratch_load_b64 v[217:218], off, off offset:320
	scratch_load_b64 v[128:129], off, off offset:16 th:TH_LOAD_LU
	v_add_f64_e32 v[10:11], v[4:5], v[6:7]
	v_add_f64_e32 v[8:9], v[8:9], v[0:1]
	v_mul_f64_e32 v[0:1], s[28:29], v[116:117]
	v_mul_f64_e32 v[6:7], s[28:29], v[118:119]
	scratch_store_b128 off, v[8:11], off offset:1904 ; 16-byte Folded Spill
	v_fma_f64 v[4:5], v[112:113], s[20:21], -v[0:1]
	v_mul_f64_e32 v[10:11], s[58:59], v[126:127]
	v_fma_f64 v[8:9], v[114:115], s[20:21], v[6:7]
	v_fma_f64 v[0:1], v[112:113], s[20:21], v[0:1]
	v_fma_f64 v[6:7], v[114:115], s[20:21], -v[6:7]
	v_add_f64_e32 v[4:5], v[4:5], v[30:31]
	v_fma_f64 v[12:13], v[120:121], s[30:31], -v[10:11]
	v_add_f64_e32 v[8:9], v[8:9], v[28:29]
	v_add_f64_e32 v[0:1], v[0:1], v[26:27]
	;; [unrolled: 1-line block ×3, first 2 shown]
	v_dual_mov_b32 v26, v242 :: v_dual_mov_b32 v27, v243
	scratch_load_b64 v[24:25], off, off offset:128 th:TH_LOAD_LU ; 8-byte Folded Reload
	v_add_f64_e32 v[4:5], v[12:13], v[4:5]
	v_mul_f64_e32 v[12:13], s[58:59], v[138:139]
	s_delay_alu instid0(VALU_DEP_1) | instskip(NEXT) | instid1(VALU_DEP_1)
	v_fma_f64 v[14:15], v[122:123], s[30:31], v[12:13]
	v_add_f64_e32 v[8:9], v[14:15], v[8:9]
	v_mul_f64_e32 v[14:15], s[50:51], v[144:145]
	s_delay_alu instid0(VALU_DEP_1) | instskip(NEXT) | instid1(VALU_DEP_1)
	v_fma_f64 v[28:29], v[140:141], s[18:19], -v[14:15]
	v_add_f64_e32 v[4:5], v[28:29], v[4:5]
	v_fma_f64 v[28:29], v[142:143], s[18:19], v[104:105]
	s_delay_alu instid0(VALU_DEP_1) | instskip(SKIP_1) | instid1(VALU_DEP_1)
	v_add_f64_e32 v[8:9], v[28:29], v[8:9]
	v_fma_f64 v[28:29], v[148:149], s[12:13], -v[106:107]
	v_add_f64_e32 v[4:5], v[28:29], v[4:5]
	v_fma_f64 v[28:29], v[150:151], s[12:13], v[164:165]
	s_delay_alu instid0(VALU_DEP_1) | instskip(SKIP_1) | instid1(VALU_DEP_1)
	v_add_f64_e32 v[8:9], v[28:29], v[8:9]
	;; [unrolled: 5-line block ×4, first 2 shown]
	v_fma_f64 v[28:29], v[172:173], s[26:27], -v[214:215]
	v_add_f64_e32 v[20:21], v[28:29], v[4:5]
	v_mul_f64_e32 v[4:5], s[34:35], v[196:197]
	scratch_load_b64 v[28:29], off, off offset:144 th:TH_LOAD_LU ; 8-byte Folded Reload
	v_fma_f64 v[30:31], v[174:175], s[26:27], v[4:5]
	v_fma_f64 v[4:5], v[174:175], s[26:27], -v[4:5]
	s_delay_alu instid0(VALU_DEP_2) | instskip(SKIP_2) | instid1(VALU_DEP_1)
	v_add_f64_e32 v[22:23], v[30:31], v[8:9]
	scratch_load_b64 v[30:31], off, off offset:160 th:TH_LOAD_LU ; 8-byte Folded Reload
	v_fma_f64 v[8:9], v[120:121], s[30:31], v[10:11]
	v_add_f64_e32 v[0:1], v[8:9], v[0:1]
	v_fma_f64 v[8:9], v[122:123], s[30:31], -v[12:13]
	s_delay_alu instid0(VALU_DEP_1) | instskip(SKIP_1) | instid1(VALU_DEP_1)
	v_add_f64_e32 v[6:7], v[8:9], v[6:7]
	v_fma_f64 v[8:9], v[140:141], s[18:19], v[14:15]
	v_add_f64_e32 v[0:1], v[8:9], v[0:1]
	v_fma_f64 v[8:9], v[142:143], s[18:19], -v[104:105]
	v_mul_f64_e32 v[104:105], s[46:47], v[146:147]
	s_delay_alu instid0(VALU_DEP_2) | instskip(SKIP_2) | instid1(VALU_DEP_2)
	v_add_f64_e32 v[6:7], v[8:9], v[6:7]
	v_fma_f64 v[8:9], v[148:149], s[12:13], v[106:107]
	v_mul_f64_e32 v[106:107], s[42:43], v[176:177]
	v_add_f64_e32 v[0:1], v[8:9], v[0:1]
	v_fma_f64 v[8:9], v[150:151], s[12:13], -v[164:165]
	v_mul_f64_e32 v[164:165], s[42:43], v[212:213]
	s_delay_alu instid0(VALU_DEP_2) | instskip(SKIP_2) | instid1(VALU_DEP_2)
	v_add_f64_e32 v[6:7], v[8:9], v[6:7]
	v_fma_f64 v[8:9], v[152:153], s[2:3], v[166:167]
	v_mul_f64_e32 v[166:167], s[34:35], v[156:157]
	;; [unrolled: 7-line block ×3, first 2 shown]
	v_add_f64_e32 v[0:1], v[8:9], v[0:1]
	v_fma_f64 v[8:9], v[162:163], s[16:17], -v[208:209]
	v_mul_f64_e32 v[208:209], s[56:57], v[170:171]
	s_delay_alu instid0(VALU_DEP_2) | instskip(SKIP_2) | instid1(VALU_DEP_3)
	v_add_f64_e32 v[6:7], v[8:9], v[6:7]
	v_fma_f64 v[8:9], v[172:173], s[26:27], v[214:215]
	v_mul_f64_e32 v[214:215], s[48:49], v[198:199]
	v_add_f64_e32 v[10:11], v[4:5], v[6:7]
	s_delay_alu instid0(VALU_DEP_3)
	v_add_f64_e32 v[8:9], v[8:9], v[0:1]
	v_mul_f64_e32 v[0:1], s[38:39], v[116:117]
	scratch_store_b128 off, v[20:23], off offset:1952 ; 16-byte Folded Spill
	v_mul_f64_e32 v[6:7], s[38:39], v[118:119]
	scratch_store_b128 off, v[8:11], off offset:1936 ; 16-byte Folded Spill
	v_fma_f64 v[4:5], v[112:113], s[30:31], -v[0:1]
	v_mul_f64_e32 v[10:11], s[50:51], v[126:127]
	v_fma_f64 v[8:9], v[114:115], s[30:31], v[6:7]
	v_fma_f64 v[0:1], v[112:113], s[30:31], v[0:1]
	v_fma_f64 v[6:7], v[114:115], s[30:31], -v[6:7]
	v_add_f64_e32 v[4:5], v[4:5], v[42:43]
	v_fma_f64 v[12:13], v[120:121], s[18:19], -v[10:11]
	v_add_f64_e32 v[8:9], v[8:9], v[40:41]
	v_add_f64_e32 v[0:1], v[0:1], v[38:39]
	;; [unrolled: 1-line block ×3, first 2 shown]
	s_clause 0x1
	scratch_load_b64 v[38:39], off, off offset:96 th:TH_LOAD_LU
	scratch_load_b64 v[36:37], off, off offset:176 th:TH_LOAD_LU
	v_add_f64_e32 v[4:5], v[12:13], v[4:5]
	v_mul_f64_e32 v[12:13], s[50:51], v[138:139]
	s_delay_alu instid0(VALU_DEP_1) | instskip(NEXT) | instid1(VALU_DEP_1)
	v_fma_f64 v[14:15], v[122:123], s[18:19], v[12:13]
	v_add_f64_e32 v[8:9], v[14:15], v[8:9]
	v_mul_f64_e32 v[14:15], s[46:47], v[144:145]
	s_delay_alu instid0(VALU_DEP_1) | instskip(NEXT) | instid1(VALU_DEP_1)
	v_fma_f64 v[40:41], v[140:141], s[2:3], -v[14:15]
	v_add_f64_e32 v[4:5], v[40:41], v[4:5]
	v_fma_f64 v[40:41], v[142:143], s[2:3], v[104:105]
	s_delay_alu instid0(VALU_DEP_1) | instskip(SKIP_1) | instid1(VALU_DEP_1)
	v_add_f64_e32 v[8:9], v[40:41], v[8:9]
	v_fma_f64 v[40:41], v[148:149], s[14:15], -v[106:107]
	v_add_f64_e32 v[4:5], v[40:41], v[4:5]
	v_fma_f64 v[40:41], v[150:151], s[14:15], v[164:165]
	s_delay_alu instid0(VALU_DEP_1) | instskip(SKIP_1) | instid1(VALU_DEP_1)
	v_add_f64_e32 v[8:9], v[40:41], v[8:9]
	;; [unrolled: 5-line block ×4, first 2 shown]
	v_fma_f64 v[40:41], v[172:173], s[12:13], -v[214:215]
	v_add_f64_e32 v[20:21], v[40:41], v[4:5]
	v_mul_f64_e32 v[4:5], s[48:49], v[196:197]
	scratch_load_b64 v[40:41], off, off offset:112 th:TH_LOAD_LU ; 8-byte Folded Reload
	v_fma_f64 v[42:43], v[174:175], s[12:13], v[4:5]
	v_fma_f64 v[4:5], v[174:175], s[12:13], -v[4:5]
	s_delay_alu instid0(VALU_DEP_2) | instskip(SKIP_4) | instid1(VALU_DEP_1)
	v_add_f64_e32 v[22:23], v[42:43], v[8:9]
	v_fma_f64 v[8:9], v[120:121], s[18:19], v[10:11]
	scratch_load_b64 v[42:43], off, off offset:192 th:TH_LOAD_LU ; 8-byte Folded Reload
	v_add_f64_e32 v[0:1], v[8:9], v[0:1]
	v_fma_f64 v[8:9], v[122:123], s[18:19], -v[12:13]
	v_add_f64_e32 v[6:7], v[8:9], v[6:7]
	v_fma_f64 v[8:9], v[140:141], s[2:3], v[14:15]
	s_delay_alu instid0(VALU_DEP_1) | instskip(SKIP_2) | instid1(VALU_DEP_2)
	v_add_f64_e32 v[0:1], v[8:9], v[0:1]
	v_fma_f64 v[8:9], v[142:143], s[2:3], -v[104:105]
	v_mul_f64_e32 v[104:105], s[42:43], v[146:147]
	v_add_f64_e32 v[6:7], v[8:9], v[6:7]
	v_fma_f64 v[8:9], v[148:149], s[14:15], v[106:107]
	v_mul_f64_e32 v[106:107], s[38:39], v[176:177]
	s_delay_alu instid0(VALU_DEP_2) | instskip(SKIP_2) | instid1(VALU_DEP_2)
	v_add_f64_e32 v[0:1], v[8:9], v[0:1]
	v_fma_f64 v[8:9], v[150:151], s[14:15], -v[164:165]
	v_mul_f64_e32 v[164:165], s[38:39], v[212:213]
	v_add_f64_e32 v[6:7], v[8:9], v[6:7]
	v_fma_f64 v[8:9], v[152:153], s[26:27], v[166:167]
	v_mul_f64_e32 v[166:167], s[52:53], v[156:157]
	s_delay_alu instid0(VALU_DEP_2) | instskip(SKIP_2) | instid1(VALU_DEP_2)
	;; [unrolled: 7-line block ×3, first 2 shown]
	v_add_f64_e32 v[0:1], v[8:9], v[0:1]
	v_fma_f64 v[8:9], v[162:163], s[20:21], -v[208:209]
	v_mul_f64_e32 v[208:209], s[24:25], v[170:171]
	v_add_f64_e32 v[6:7], v[8:9], v[6:7]
	v_fma_f64 v[8:9], v[172:173], s[12:13], v[214:215]
	v_mul_f64_e32 v[214:215], s[28:29], v[198:199]
	s_delay_alu instid0(VALU_DEP_3) | instskip(NEXT) | instid1(VALU_DEP_3)
	v_add_f64_e32 v[10:11], v[4:5], v[6:7]
	v_add_f64_e32 v[8:9], v[8:9], v[0:1]
	v_mul_f64_e32 v[0:1], s[54:55], v[116:117]
	scratch_store_b128 off, v[20:23], off offset:1984 ; 16-byte Folded Spill
	v_mul_f64_e32 v[6:7], s[54:55], v[118:119]
	s_clause 0x1
	scratch_load_b64 v[22:23], off, off offset:336
	scratch_load_b64 v[20:21], off, off offset:2056
	scratch_store_b128 off, v[8:11], off offset:1968 ; 16-byte Folded Spill
	v_fma_f64 v[4:5], v[112:113], s[26:27], -v[0:1]
	v_mul_f64_e32 v[10:11], s[48:49], v[126:127]
	v_fma_f64 v[8:9], v[114:115], s[26:27], v[6:7]
	v_fma_f64 v[0:1], v[112:113], s[26:27], v[0:1]
	v_fma_f64 v[6:7], v[114:115], s[26:27], -v[6:7]
	v_add_f64_e32 v[4:5], v[4:5], v[46:47]
	v_fma_f64 v[12:13], v[120:121], s[12:13], -v[10:11]
	v_add_f64_e32 v[8:9], v[8:9], v[44:45]
	v_add_f64_e32 v[0:1], v[0:1], v[50:51]
	;; [unrolled: 1-line block ×3, first 2 shown]
	s_delay_alu instid0(VALU_DEP_4) | instskip(SKIP_1) | instid1(VALU_DEP_1)
	v_add_f64_e32 v[4:5], v[12:13], v[4:5]
	v_mul_f64_e32 v[12:13], s[48:49], v[138:139]
	v_fma_f64 v[14:15], v[122:123], s[12:13], v[12:13]
	s_delay_alu instid0(VALU_DEP_1) | instskip(SKIP_1) | instid1(VALU_DEP_1)
	v_add_f64_e32 v[8:9], v[14:15], v[8:9]
	v_mul_f64_e32 v[14:15], s[42:43], v[144:145]
	v_fma_f64 v[44:45], v[140:141], s[14:15], -v[14:15]
	s_delay_alu instid0(VALU_DEP_1) | instskip(SKIP_1) | instid1(VALU_DEP_1)
	v_add_f64_e32 v[4:5], v[44:45], v[4:5]
	v_fma_f64 v[44:45], v[142:143], s[14:15], v[104:105]
	v_add_f64_e32 v[8:9], v[44:45], v[8:9]
	v_fma_f64 v[44:45], v[148:149], s[30:31], -v[106:107]
	s_delay_alu instid0(VALU_DEP_1) | instskip(SKIP_1) | instid1(VALU_DEP_1)
	v_add_f64_e32 v[4:5], v[44:45], v[4:5]
	v_fma_f64 v[44:45], v[150:151], s[30:31], v[164:165]
	v_add_f64_e32 v[8:9], v[44:45], v[8:9]
	;; [unrolled: 5-line block ×4, first 2 shown]
	v_fma_f64 v[44:45], v[172:173], s[20:21], -v[214:215]
	s_delay_alu instid0(VALU_DEP_1) | instskip(SKIP_1) | instid1(VALU_DEP_1)
	v_add_f64_e32 v[44:45], v[44:45], v[4:5]
	v_mul_f64_e32 v[4:5], s[28:29], v[196:197]
	v_fma_f64 v[46:47], v[174:175], s[20:21], v[4:5]
	v_fma_f64 v[4:5], v[174:175], s[20:21], -v[4:5]
	s_delay_alu instid0(VALU_DEP_2) | instskip(SKIP_2) | instid1(VALU_DEP_2)
	v_add_f64_e32 v[46:47], v[46:47], v[8:9]
	v_fma_f64 v[8:9], v[120:121], s[12:13], v[10:11]
	v_mul_f64_e32 v[10:11], s[24:25], v[126:127]
	v_add_f64_e32 v[0:1], v[8:9], v[0:1]
	v_fma_f64 v[8:9], v[122:123], s[12:13], -v[12:13]
	s_delay_alu instid0(VALU_DEP_3) | instskip(NEXT) | instid1(VALU_DEP_2)
	v_fma_f64 v[12:13], v[120:121], s[2:3], -v[10:11]
	v_add_f64_e32 v[6:7], v[8:9], v[6:7]
	v_fma_f64 v[8:9], v[140:141], s[14:15], v[14:15]
	s_delay_alu instid0(VALU_DEP_1) | instskip(SKIP_2) | instid1(VALU_DEP_2)
	v_add_f64_e32 v[0:1], v[8:9], v[0:1]
	v_fma_f64 v[8:9], v[142:143], s[14:15], -v[104:105]
	v_mul_f64_e32 v[104:105], s[34:35], v[146:147]
	v_add_f64_e32 v[6:7], v[8:9], v[6:7]
	v_fma_f64 v[8:9], v[148:149], s[30:31], v[106:107]
	v_mul_f64_e32 v[106:107], s[52:53], v[176:177]
	s_delay_alu instid0(VALU_DEP_2) | instskip(SKIP_2) | instid1(VALU_DEP_2)
	v_add_f64_e32 v[0:1], v[8:9], v[0:1]
	v_fma_f64 v[8:9], v[150:151], s[30:31], -v[164:165]
	v_mul_f64_e32 v[164:165], s[52:53], v[212:213]
	v_add_f64_e32 v[6:7], v[8:9], v[6:7]
	v_fma_f64 v[8:9], v[152:153], s[16:17], v[166:167]
	v_mul_f64_e32 v[166:167], s[40:41], v[156:157]
	s_delay_alu instid0(VALU_DEP_2) | instskip(SKIP_2) | instid1(VALU_DEP_2)
	;; [unrolled: 7-line block ×3, first 2 shown]
	v_add_f64_e32 v[0:1], v[8:9], v[0:1]
	v_fma_f64 v[8:9], v[162:163], s[2:3], -v[208:209]
	v_mul_f64_e32 v[208:209], s[38:39], v[170:171]
	v_add_f64_e32 v[6:7], v[8:9], v[6:7]
	v_fma_f64 v[8:9], v[172:173], s[20:21], v[214:215]
	v_mul_f64_e32 v[214:215], s[44:45], v[198:199]
	s_delay_alu instid0(VALU_DEP_3) | instskip(NEXT) | instid1(VALU_DEP_3)
	v_add_f64_e32 v[50:51], v[4:5], v[6:7]
	v_add_f64_e32 v[48:49], v[8:9], v[0:1]
	v_mul_f64_e32 v[0:1], s[50:51], v[116:117]
	v_mul_f64_e32 v[6:7], s[50:51], v[118:119]
	s_delay_alu instid0(VALU_DEP_2) | instskip(NEXT) | instid1(VALU_DEP_2)
	v_fma_f64 v[4:5], v[112:113], s[18:19], -v[0:1]
	v_fma_f64 v[8:9], v[114:115], s[18:19], v[6:7]
	v_fma_f64 v[0:1], v[112:113], s[18:19], v[0:1]
	v_fma_f64 v[6:7], v[114:115], s[18:19], -v[6:7]
	s_delay_alu instid0(VALU_DEP_4) | instskip(NEXT) | instid1(VALU_DEP_4)
	v_add_f64_e32 v[4:5], v[4:5], v[54:55]
	v_add_f64_e32 v[8:9], v[8:9], v[52:53]
	s_delay_alu instid0(VALU_DEP_4) | instskip(NEXT) | instid1(VALU_DEP_4)
	v_add_f64_e32 v[0:1], v[0:1], v[58:59]
	v_add_f64_e32 v[6:7], v[6:7], v[56:57]
	s_delay_alu instid0(VALU_DEP_4) | instskip(SKIP_1) | instid1(VALU_DEP_1)
	v_add_f64_e32 v[4:5], v[12:13], v[4:5]
	v_mul_f64_e32 v[12:13], s[24:25], v[138:139]
	v_fma_f64 v[14:15], v[122:123], s[2:3], v[12:13]
	s_delay_alu instid0(VALU_DEP_1) | instskip(SKIP_1) | instid1(VALU_DEP_1)
	v_add_f64_e32 v[8:9], v[14:15], v[8:9]
	v_mul_f64_e32 v[14:15], s[34:35], v[144:145]
	v_fma_f64 v[52:53], v[140:141], s[26:27], -v[14:15]
	s_delay_alu instid0(VALU_DEP_1) | instskip(SKIP_1) | instid1(VALU_DEP_1)
	v_add_f64_e32 v[4:5], v[52:53], v[4:5]
	v_fma_f64 v[52:53], v[142:143], s[26:27], v[104:105]
	v_add_f64_e32 v[8:9], v[52:53], v[8:9]
	v_fma_f64 v[52:53], v[148:149], s[16:17], -v[106:107]
	s_delay_alu instid0(VALU_DEP_1) | instskip(SKIP_1) | instid1(VALU_DEP_1)
	v_add_f64_e32 v[4:5], v[52:53], v[4:5]
	v_fma_f64 v[52:53], v[150:151], s[16:17], v[164:165]
	v_add_f64_e32 v[8:9], v[52:53], v[8:9]
	;; [unrolled: 5-line block ×4, first 2 shown]
	v_fma_f64 v[52:53], v[172:173], s[14:15], -v[214:215]
	s_delay_alu instid0(VALU_DEP_1) | instskip(SKIP_1) | instid1(VALU_DEP_1)
	v_add_f64_e32 v[52:53], v[52:53], v[4:5]
	v_mul_f64_e32 v[4:5], s[44:45], v[196:197]
	v_fma_f64 v[54:55], v[174:175], s[14:15], v[4:5]
	v_fma_f64 v[4:5], v[174:175], s[14:15], -v[4:5]
	s_delay_alu instid0(VALU_DEP_2) | instskip(SKIP_2) | instid1(VALU_DEP_2)
	v_add_f64_e32 v[54:55], v[54:55], v[8:9]
	v_fma_f64 v[8:9], v[120:121], s[2:3], v[10:11]
	v_mul_f64_e32 v[10:11], s[36:37], v[126:127]
	v_add_f64_e32 v[0:1], v[8:9], v[0:1]
	v_fma_f64 v[8:9], v[122:123], s[2:3], -v[12:13]
	s_delay_alu instid0(VALU_DEP_3) | instskip(NEXT) | instid1(VALU_DEP_2)
	v_fma_f64 v[12:13], v[120:121], s[16:17], -v[10:11]
	v_add_f64_e32 v[6:7], v[8:9], v[6:7]
	v_fma_f64 v[8:9], v[140:141], s[26:27], v[14:15]
	s_delay_alu instid0(VALU_DEP_1) | instskip(SKIP_2) | instid1(VALU_DEP_2)
	v_add_f64_e32 v[0:1], v[8:9], v[0:1]
	v_fma_f64 v[8:9], v[142:143], s[26:27], -v[104:105]
	v_mul_f64_e32 v[104:105], s[56:57], v[146:147]
	v_add_f64_e32 v[6:7], v[8:9], v[6:7]
	v_fma_f64 v[8:9], v[148:149], s[16:17], v[106:107]
	v_mul_f64_e32 v[106:107], s[24:25], v[176:177]
	s_delay_alu instid0(VALU_DEP_2) | instskip(SKIP_2) | instid1(VALU_DEP_2)
	v_add_f64_e32 v[0:1], v[8:9], v[0:1]
	v_fma_f64 v[8:9], v[150:151], s[16:17], -v[164:165]
	v_mul_f64_e32 v[164:165], s[24:25], v[212:213]
	v_add_f64_e32 v[6:7], v[8:9], v[6:7]
	v_fma_f64 v[8:9], v[152:153], s[12:13], v[166:167]
	v_mul_f64_e32 v[166:167], s[38:39], v[156:157]
	s_delay_alu instid0(VALU_DEP_2) | instskip(SKIP_2) | instid1(VALU_DEP_2)
	;; [unrolled: 7-line block ×3, first 2 shown]
	v_add_f64_e32 v[0:1], v[8:9], v[0:1]
	v_fma_f64 v[8:9], v[162:163], s[30:31], -v[208:209]
	v_mul_f64_e32 v[208:209], s[48:49], v[170:171]
	v_add_f64_e32 v[6:7], v[8:9], v[6:7]
	v_fma_f64 v[8:9], v[172:173], s[14:15], v[214:215]
	v_mul_f64_e32 v[214:215], s[22:23], v[198:199]
	s_delay_alu instid0(VALU_DEP_3) | instskip(NEXT) | instid1(VALU_DEP_3)
	v_add_f64_e32 v[58:59], v[4:5], v[6:7]
	v_add_f64_e32 v[56:57], v[8:9], v[0:1]
	v_mul_f64_e32 v[0:1], s[44:45], v[116:117]
	v_mul_f64_e32 v[6:7], s[44:45], v[118:119]
	s_delay_alu instid0(VALU_DEP_2) | instskip(NEXT) | instid1(VALU_DEP_2)
	v_fma_f64 v[4:5], v[112:113], s[14:15], -v[0:1]
	v_fma_f64 v[8:9], v[114:115], s[14:15], v[6:7]
	v_fma_f64 v[0:1], v[112:113], s[14:15], v[0:1]
	v_fma_f64 v[6:7], v[114:115], s[14:15], -v[6:7]
	s_delay_alu instid0(VALU_DEP_4) | instskip(NEXT) | instid1(VALU_DEP_4)
	v_add_f64_e32 v[4:5], v[4:5], v[62:63]
	v_add_f64_e32 v[8:9], v[8:9], v[60:61]
	s_delay_alu instid0(VALU_DEP_4) | instskip(NEXT) | instid1(VALU_DEP_4)
	v_add_f64_e32 v[0:1], v[0:1], v[66:67]
	v_add_f64_e32 v[6:7], v[6:7], v[64:65]
	s_delay_alu instid0(VALU_DEP_4) | instskip(SKIP_1) | instid1(VALU_DEP_1)
	v_add_f64_e32 v[4:5], v[12:13], v[4:5]
	v_mul_f64_e32 v[12:13], s[36:37], v[138:139]
	v_fma_f64 v[14:15], v[122:123], s[16:17], v[12:13]
	s_delay_alu instid0(VALU_DEP_1) | instskip(SKIP_1) | instid1(VALU_DEP_1)
	v_add_f64_e32 v[8:9], v[14:15], v[8:9]
	v_mul_f64_e32 v[14:15], s[56:57], v[144:145]
	v_fma_f64 v[60:61], v[140:141], s[20:21], -v[14:15]
	s_delay_alu instid0(VALU_DEP_1) | instskip(SKIP_1) | instid1(VALU_DEP_1)
	v_add_f64_e32 v[4:5], v[60:61], v[4:5]
	v_fma_f64 v[60:61], v[142:143], s[20:21], v[104:105]
	v_add_f64_e32 v[8:9], v[60:61], v[8:9]
	v_fma_f64 v[60:61], v[148:149], s[2:3], -v[106:107]
	s_delay_alu instid0(VALU_DEP_1) | instskip(SKIP_1) | instid1(VALU_DEP_1)
	v_add_f64_e32 v[4:5], v[60:61], v[4:5]
	v_fma_f64 v[60:61], v[150:151], s[2:3], v[164:165]
	v_add_f64_e32 v[8:9], v[60:61], v[8:9]
	;; [unrolled: 5-line block ×4, first 2 shown]
	v_fma_f64 v[60:61], v[172:173], s[18:19], -v[214:215]
	s_delay_alu instid0(VALU_DEP_1) | instskip(SKIP_1) | instid1(VALU_DEP_1)
	v_add_f64_e32 v[60:61], v[60:61], v[4:5]
	v_mul_f64_e32 v[4:5], s[22:23], v[196:197]
	v_fma_f64 v[62:63], v[174:175], s[18:19], v[4:5]
	v_fma_f64 v[4:5], v[174:175], s[18:19], -v[4:5]
	s_delay_alu instid0(VALU_DEP_2) | instskip(SKIP_3) | instid1(VALU_DEP_3)
	v_add_f64_e32 v[62:63], v[62:63], v[8:9]
	v_fma_f64 v[8:9], v[120:121], s[16:17], v[10:11]
	v_mul_f64_e32 v[10:11], s[34:35], v[126:127]
	v_mul_f64_e32 v[126:127], s[44:45], v[158:159]
	v_add_f64_e32 v[0:1], v[8:9], v[0:1]
	v_fma_f64 v[8:9], v[122:123], s[16:17], -v[12:13]
	s_delay_alu instid0(VALU_DEP_4) | instskip(NEXT) | instid1(VALU_DEP_2)
	v_fma_f64 v[12:13], v[120:121], s[26:27], -v[10:11]
	v_add_f64_e32 v[6:7], v[8:9], v[6:7]
	v_fma_f64 v[8:9], v[140:141], s[20:21], v[14:15]
	s_delay_alu instid0(VALU_DEP_1) | instskip(SKIP_1) | instid1(VALU_DEP_1)
	v_add_f64_e32 v[0:1], v[8:9], v[0:1]
	v_fma_f64 v[8:9], v[142:143], s[20:21], -v[104:105]
	v_add_f64_e32 v[6:7], v[8:9], v[6:7]
	v_fma_f64 v[8:9], v[148:149], s[2:3], v[106:107]
	s_delay_alu instid0(VALU_DEP_1) | instskip(SKIP_1) | instid1(VALU_DEP_1)
	v_add_f64_e32 v[0:1], v[8:9], v[0:1]
	;; [unrolled: 5-line block ×3, first 2 shown]
	v_fma_f64 v[8:9], v[154:155], s[30:31], -v[192:193]
	v_add_f64_e32 v[6:7], v[8:9], v[6:7]
	v_fma_f64 v[8:9], v[160:161], s[12:13], v[194:195]
	scratch_load_b64 v[194:195], off, off offset:48 th:TH_LOAD_LU ; 8-byte Folded Reload
	v_add_f64_e32 v[0:1], v[8:9], v[0:1]
	v_fma_f64 v[8:9], v[162:163], s[12:13], -v[208:209]
	s_delay_alu instid0(VALU_DEP_1)
	v_add_f64_e32 v[6:7], v[8:9], v[6:7]
	v_fma_f64 v[8:9], v[172:173], s[18:19], v[214:215]
	scratch_load_b64 v[215:216], off, off offset:304 ; 8-byte Folded Reload
	v_add_f64_e32 v[66:67], v[4:5], v[6:7]
	v_mul_f64_e32 v[4:5], s[46:47], v[116:117]
	v_add_f64_e32 v[64:65], v[8:9], v[0:1]
	v_mul_f64_e32 v[6:7], s[46:47], v[118:119]
	v_mul_f64_e32 v[116:117], s[28:29], v[212:213]
	;; [unrolled: 1-line block ×4, first 2 shown]
	scratch_load_b64 v[213:214], off, off offset:272 ; 8-byte Folded Reload
	v_fma_f64 v[0:1], v[112:113], s[2:3], -v[4:5]
	v_fma_f64 v[4:5], v[112:113], s[2:3], v[4:5]
	v_fma_f64 v[8:9], v[114:115], s[2:3], v[6:7]
	v_fma_f64 v[6:7], v[114:115], s[2:3], -v[6:7]
	s_delay_alu instid0(VALU_DEP_4) | instskip(NEXT) | instid1(VALU_DEP_3)
	v_add_f64_e32 v[0:1], v[0:1], v[110:111]
	v_add_f64_e32 v[8:9], v[8:9], v[108:109]
	s_delay_alu instid0(VALU_DEP_2) | instskip(SKIP_2) | instid1(VALU_DEP_2)
	v_add_f64_e32 v[0:1], v[12:13], v[0:1]
	v_mul_f64_e32 v[12:13], s[34:35], v[138:139]
	v_mul_f64_e32 v[138:139], s[22:23], v[168:169]
	v_fma_f64 v[14:15], v[122:123], s[26:27], v[12:13]
	s_delay_alu instid0(VALU_DEP_1) | instskip(SKIP_2) | instid1(VALU_DEP_2)
	v_add_f64_e32 v[8:9], v[14:15], v[8:9]
	v_mul_f64_e32 v[14:15], s[48:49], v[144:145]
	v_mul_f64_e32 v[144:145], s[22:23], v[170:171]
	v_fma_f64 v[104:105], v[140:141], s[12:13], -v[14:15]
	s_delay_alu instid0(VALU_DEP_1) | instskip(SKIP_2) | instid1(VALU_DEP_2)
	v_add_f64_e32 v[0:1], v[104:105], v[0:1]
	v_mul_f64_e32 v[104:105], s[48:49], v[146:147]
	v_mul_f64_e32 v[146:147], s[52:53], v[198:199]
	v_fma_f64 v[106:107], v[142:143], s[12:13], v[104:105]
	s_delay_alu instid0(VALU_DEP_1) | instskip(SKIP_1) | instid1(VALU_DEP_1)
	v_add_f64_e32 v[8:9], v[106:107], v[8:9]
	v_mul_f64_e32 v[106:107], s[28:29], v[176:177]
	v_fma_f64 v[108:109], v[148:149], s[20:21], -v[106:107]
	s_delay_alu instid0(VALU_DEP_1) | instskip(SKIP_1) | instid1(VALU_DEP_1)
	v_add_f64_e32 v[0:1], v[108:109], v[0:1]
	v_fma_f64 v[108:109], v[150:151], s[20:21], v[116:117]
	v_add_f64_e32 v[8:9], v[108:109], v[8:9]
	v_fma_f64 v[108:109], v[152:153], s[14:15], -v[118:119]
	s_delay_alu instid0(VALU_DEP_1) | instskip(SKIP_1) | instid1(VALU_DEP_1)
	v_add_f64_e32 v[0:1], v[108:109], v[0:1]
	v_fma_f64 v[108:109], v[154:155], s[14:15], v[126:127]
	v_add_f64_e32 v[8:9], v[108:109], v[8:9]
	;; [unrolled: 5-line block ×4, first 2 shown]
	s_clause 0x1
	scratch_load_b64 v[0:1], off, off offset:2040 th:TH_LOAD_LU
	scratch_load_b64 v[8:9], off, off offset:2048 th:TH_LOAD_LU
	s_wait_loadcnt 0x1
	v_add_f64_e32 v[0:1], v[0:1], v[234:235]
	s_wait_loadcnt 0x0
	v_add_f64_e32 v[8:9], v[8:9], v[240:241]
	s_delay_alu instid0(VALU_DEP_2) | instskip(NEXT) | instid1(VALU_DEP_2)
	v_add_f64_e32 v[0:1], v[0:1], v[210:211]
	v_add_f64_e32 v[8:9], v[8:9], v[254:255]
	scratch_load_b64 v[211:212], off, off offset:288 ; 8-byte Folded Reload
	v_add_f64_e32 v[0:1], v[0:1], v[2:3]
	v_add_f64_e32 v[2:3], v[8:9], v[178:179]
	v_fma_f64 v[8:9], v[120:121], s[26:27], v[10:11]
	v_fma_f64 v[10:11], v[122:123], s[26:27], -v[12:13]
	s_clause 0x1
	scratch_load_b64 v[12:13], off, off offset:256 th:TH_LOAD_LU
	scratch_load_b64 v[178:179], off, off offset:80 th:TH_LOAD_LU
	v_add_f64_e32 v[0:1], v[0:1], v[92:93]
	v_add_f64_e32 v[2:3], v[2:3], v[94:95]
	s_delay_alu instid0(VALU_DEP_2) | instskip(NEXT) | instid1(VALU_DEP_2)
	v_add_f64_e32 v[0:1], v[0:1], v[96:97]
	v_add_f64_e32 v[2:3], v[2:3], v[98:99]
	s_delay_alu instid0(VALU_DEP_2) | instskip(NEXT) | instid1(VALU_DEP_2)
	v_add_f64_e32 v[0:1], v[0:1], v[90:91]
	v_add_f64_e32 v[2:3], v[2:3], v[88:89]
	s_delay_alu instid0(VALU_DEP_2) | instskip(NEXT) | instid1(VALU_DEP_2)
	v_add_f64_e32 v[0:1], v[0:1], v[86:87]
	v_add_f64_e32 v[2:3], v[2:3], v[84:85]
	s_delay_alu instid0(VALU_DEP_2) | instskip(NEXT) | instid1(VALU_DEP_2)
	v_add_f64_e32 v[0:1], v[0:1], v[78:79]
	v_add_f64_e32 v[2:3], v[2:3], v[76:77]
	s_delay_alu instid0(VALU_DEP_2) | instskip(NEXT) | instid1(VALU_DEP_2)
	v_add_f64_e32 v[0:1], v[0:1], v[80:81]
	v_add_f64_e32 v[2:3], v[2:3], v[82:83]
	s_delay_alu instid0(VALU_DEP_2) | instskip(NEXT) | instid1(VALU_DEP_2)
	v_add_f64_e32 v[0:1], v[0:1], v[70:71]
	v_add_f64_e32 v[2:3], v[2:3], v[68:69]
	s_delay_alu instid0(VALU_DEP_2) | instskip(NEXT) | instid1(VALU_DEP_2)
	v_add_f64_e32 v[0:1], v[0:1], v[200:201]
	v_add_f64_e32 v[2:3], v[2:3], v[202:203]
	s_wait_loadcnt 0x1
	v_add_f64_e32 v[4:5], v[4:5], v[12:13]
	scratch_load_b64 v[12:13], off, off offset:2032 th:TH_LOAD_LU ; 8-byte Folded Reload
	v_add_f64_e32 v[0:1], v[0:1], v[100:101]
	v_add_f64_e32 v[2:3], v[2:3], v[102:103]
	;; [unrolled: 1-line block ×3, first 2 shown]
	v_fma_f64 v[8:9], v[148:149], s[20:21], v[106:107]
	s_delay_alu instid0(VALU_DEP_4) | instskip(NEXT) | instid1(VALU_DEP_4)
	v_add_f64_e32 v[0:1], v[0:1], v[72:73]
	v_add_f64_e32 v[2:3], v[2:3], v[74:75]
	s_delay_alu instid0(VALU_DEP_2) | instskip(NEXT) | instid1(VALU_DEP_2)
	v_add_f64_e32 v[0:1], v[0:1], v[184:185]
	v_add_f64_e32 v[2:3], v[2:3], v[186:187]
	s_clause 0x1
	scratch_load_b64 v[186:187], off, off offset:32 th:TH_LOAD_LU
	scratch_load_b64 v[184:185], off, off offset:240 th:TH_LOAD_LU
	v_add_f64_e32 v[0:1], v[0:1], v[180:181]
	v_add_f64_e32 v[2:3], v[2:3], v[182:183]
	scratch_load_b64 v[182:183], off, off offset:224 th:TH_LOAD_LU ; 8-byte Folded Reload
	s_wait_loadcnt 0x3
	v_add_f64_e32 v[6:7], v[6:7], v[12:13]
	v_fma_f64 v[12:13], v[140:141], s[12:13], v[14:15]
	v_fma_f64 v[14:15], v[142:143], s[12:13], -v[104:105]
	s_delay_alu instid0(VALU_DEP_3) | instskip(NEXT) | instid1(VALU_DEP_3)
	v_add_f64_e32 v[6:7], v[10:11], v[6:7]
	v_add_f64_e32 v[4:5], v[12:13], v[4:5]
	v_fma_f64 v[12:13], v[152:153], s[14:15], v[118:119]
	v_fma_f64 v[10:11], v[150:151], s[20:21], -v[116:117]
	s_delay_alu instid0(VALU_DEP_4) | instskip(NEXT) | instid1(VALU_DEP_4)
	v_add_f64_e32 v[6:7], v[14:15], v[6:7]
	v_add_f64_e32 v[4:5], v[8:9], v[4:5]
	v_fma_f64 v[8:9], v[160:161], s[18:19], v[138:139]
	v_fma_f64 v[14:15], v[154:155], s[14:15], -v[126:127]
	s_delay_alu instid0(VALU_DEP_4) | instskip(NEXT) | instid1(VALU_DEP_4)
	v_add_f64_e32 v[6:7], v[10:11], v[6:7]
	v_add_f64_e32 v[4:5], v[12:13], v[4:5]
	v_fma_f64 v[12:13], v[172:173], s[16:17], v[146:147]
	scratch_load_b64 v[172:173], off, off offset:64 th:TH_LOAD_LU ; 8-byte Folded Reload
	v_fma_f64 v[10:11], v[162:163], s[18:19], -v[144:145]
	v_add_f64_e32 v[6:7], v[14:15], v[6:7]
	v_add_f64_e32 v[4:5], v[8:9], v[4:5]
	v_fma_f64 v[14:15], v[174:175], s[16:17], -v[156:157]
	scratch_load_b64 v[174:175], off, off offset:208 th:TH_LOAD_LU ; 8-byte Folded Reload
	v_add_f64_e32 v[8:9], v[204:205], v[136:137]
	v_add_f64_e32 v[6:7], v[10:11], v[6:7]
	;; [unrolled: 1-line block ×4, first 2 shown]
	v_add_f64_e64 v[10:11], v[204:205], -v[136:137]
	s_delay_alu instid0(VALU_DEP_4) | instskip(SKIP_1) | instid1(VALU_DEP_4)
	v_add_f64_e32 v[14:15], v[14:15], v[6:7]
	v_add_f64_e32 v[6:7], v[34:35], v[206:207]
	;; [unrolled: 1-line block ×3, first 2 shown]
	s_delay_alu instid0(VALU_DEP_4)
	v_mul_f64_e32 v[96:97], s[42:43], v[10:11]
	v_mul_f64_e32 v[98:99], s[36:37], v[10:11]
	;; [unrolled: 1-line block ×5, first 2 shown]
	v_add_f64_e32 v[6:7], v[6:7], v[188:189]
	v_add_f64_e32 v[4:5], v[4:5], v[248:249]
	s_delay_alu instid0(VALU_DEP_2) | instskip(NEXT) | instid1(VALU_DEP_2)
	v_add_f64_e32 v[6:7], v[6:7], v[250:251]
	v_add_f64_e32 v[4:5], v[4:5], v[128:129]
	s_delay_alu instid0(VALU_DEP_2) | instskip(SKIP_1) | instid1(VALU_DEP_2)
	v_add_f64_e32 v[6:7], v[6:7], v[130:131]
	s_wait_loadcnt 0x4
	v_add_f64_e32 v[4:5], v[4:5], v[186:187]
	s_delay_alu instid0(VALU_DEP_2) | instskip(NEXT) | instid1(VALU_DEP_1)
	v_add_f64_e32 v[6:7], v[6:7], v[194:195]
	v_add_f64_e32 v[6:7], v[6:7], v[178:179]
	s_wait_loadcnt 0x1
	s_delay_alu instid0(VALU_DEP_3) | instskip(NEXT) | instid1(VALU_DEP_2)
	v_add_f64_e32 v[4:5], v[4:5], v[172:173]
	v_add_f64_e32 v[6:7], v[6:7], v[40:41]
	s_delay_alu instid0(VALU_DEP_2) | instskip(NEXT) | instid1(VALU_DEP_2)
	v_add_f64_e32 v[4:5], v[4:5], v[38:39]
	v_add_f64_e32 v[6:7], v[6:7], v[28:29]
	s_delay_alu instid0(VALU_DEP_2) | instskip(NEXT) | instid1(VALU_DEP_2)
	v_add_f64_e32 v[4:5], v[4:5], v[24:25]
	v_add_f64_e32 v[6:7], v[6:7], v[36:37]
	s_delay_alu instid0(VALU_DEP_2) | instskip(SKIP_1) | instid1(VALU_DEP_2)
	v_add_f64_e32 v[4:5], v[4:5], v[30:31]
	s_wait_loadcnt 0x0
	v_add_f64_e32 v[6:7], v[6:7], v[174:175]
	s_delay_alu instid0(VALU_DEP_2) | instskip(NEXT) | instid1(VALU_DEP_2)
	v_add_f64_e32 v[4:5], v[4:5], v[42:43]
	v_add_f64_e32 v[6:7], v[6:7], v[184:185]
	s_delay_alu instid0(VALU_DEP_2) | instskip(NEXT) | instid1(VALU_DEP_2)
	v_add_f64_e32 v[4:5], v[4:5], v[182:183]
	;; [unrolled: 3-line block ×6, first 2 shown]
	v_add_f64_e32 v[114:115], v[6:7], v[124:125]
	v_add_f64_e32 v[6:7], v[206:207], v[124:125]
	s_delay_alu instid0(VALU_DEP_3) | instskip(SKIP_1) | instid1(VALU_DEP_3)
	v_add_f64_e32 v[112:113], v[4:5], v[136:137]
	v_add_f64_e64 v[4:5], v[206:207], -v[124:125]
	v_fma_f64 v[122:123], v[6:7], s[14:15], v[96:97]
	v_fma_f64 v[124:125], v[6:7], s[16:17], v[98:99]
	v_fma_f64 v[98:99], v[6:7], s[16:17], -v[98:99]
	v_fma_f64 v[96:97], v[6:7], s[14:15], -v[96:97]
	v_fma_f64 v[126:127], v[6:7], s[18:19], v[104:105]
	v_fma_f64 v[104:105], v[6:7], s[18:19], -v[104:105]
	v_fma_f64 v[148:149], v[6:7], s[20:21], v[106:107]
	;; [unrolled: 2-line block ×3, first 2 shown]
	v_fma_f64 v[156:157], v[6:7], s[26:27], -v[116:117]
	v_mul_f64_e32 v[68:69], s[24:25], v[4:5]
	v_mul_f64_e32 v[70:71], s[40:41], v[4:5]
	;; [unrolled: 1-line block ×8, first 2 shown]
	v_add_f64_e32 v[152:153], v[34:35], v[122:123]
	v_add_f64_e32 v[140:141], v[34:35], v[124:125]
	;; [unrolled: 1-line block ×6, first 2 shown]
	v_dual_mov_b32 v148, v172 :: v_dual_mov_b32 v149, v173
	v_fma_f64 v[82:83], v[8:9], s[2:3], -v[68:69]
	v_fma_f64 v[68:69], v[8:9], s[2:3], v[68:69]
	v_fma_f64 v[84:85], v[8:9], s[12:13], -v[70:71]
	v_fma_f64 v[70:71], v[8:9], s[12:13], v[70:71]
	;; [unrolled: 2-line block ×8, first 2 shown]
	v_mul_f64_e32 v[4:5], s[24:25], v[10:11]
	v_mul_f64_e32 v[80:81], s[40:41], v[10:11]
	;; [unrolled: 1-line block ×3, first 2 shown]
	v_add_f64_e32 v[164:165], v[32:33], v[82:83]
	v_add_f64_e32 v[180:181], v[32:33], v[68:69]
	;; [unrolled: 1-line block ×16, first 2 shown]
	v_fma_f64 v[118:119], v[6:7], s[2:3], v[4:5]
	v_fma_f64 v[4:5], v[6:7], s[2:3], -v[4:5]
	v_fma_f64 v[120:121], v[6:7], s[12:13], v[80:81]
	v_fma_f64 v[80:81], v[6:7], s[12:13], -v[80:81]
	;; [unrolled: 2-line block ×3, first 2 shown]
	v_add_f64_e32 v[6:7], v[32:33], v[100:101]
	v_add_f64_e64 v[74:75], v[190:191], -v[134:135]
	v_add_f64_e64 v[86:87], v[250:251], -v[16:17]
	;; [unrolled: 1-line block ×3, first 2 shown]
	v_add_f64_e32 v[16:17], v[250:251], v[16:17]
	v_add_f64_e64 v[102:103], v[130:131], -v[236:237]
	v_add_f64_e32 v[166:167], v[34:35], v[118:119]
	v_add_f64_e32 v[118:119], v[32:33], v[76:77]
	v_add_f64_e64 v[76:77], v[188:189], -v[18:19]
	v_add_f64_e32 v[176:177], v[34:35], v[4:5]
	v_add_f64_e32 v[168:169], v[34:35], v[120:121]
	v_add_f64_e32 v[160:161], v[34:35], v[80:81]
	v_add_f64_e32 v[120:121], v[34:35], v[126:127]
	v_add_f64_e32 v[80:81], v[34:35], v[150:151]
	v_add_f64_e32 v[4:5], v[34:35], v[156:157]
	v_add_f64_e32 v[70:71], v[34:35], v[158:159]
	v_add_f64_e32 v[10:11], v[34:35], v[10:11]
	v_add_f64_e32 v[18:19], v[188:189], v[18:19]
	v_mul_f64_e32 v[104:105], s[42:43], v[86:87]
	v_mul_f64_e32 v[188:189], s[42:43], v[84:85]
	;; [unrolled: 1-line block ×3, first 2 shown]
	v_dual_mov_b32 v158, v182 :: v_dual_mov_b32 v159, v183
	v_add_f64_e64 v[182:183], v[28:29], -v[36:37]
	v_mul_f64_e32 v[32:33], s[40:41], v[76:77]
	s_delay_alu instid0(VALU_DEP_2) | instskip(NEXT) | instid1(VALU_DEP_2)
	v_mul_f64_e32 v[206:207], s[38:39], v[182:183]
	v_fma_f64 v[34:35], v[68:69], s[12:13], -v[32:33]
	v_fma_f64 v[32:33], v[68:69], s[12:13], v[32:33]
	s_delay_alu instid0(VALU_DEP_2) | instskip(SKIP_1) | instid1(VALU_DEP_3)
	v_add_f64_e32 v[92:93], v[34:35], v[164:165]
	v_mul_f64_e32 v[34:35], s[40:41], v[74:75]
	v_add_f64_e32 v[32:33], v[32:33], v[180:181]
	v_mul_f64_e32 v[180:181], s[28:29], v[86:87]
	s_delay_alu instid0(VALU_DEP_3) | instskip(SKIP_1) | instid1(VALU_DEP_2)
	v_fma_f64 v[78:79], v[18:19], s[12:13], v[34:35]
	v_fma_f64 v[34:35], v[18:19], s[12:13], -v[34:35]
	v_add_f64_e32 v[94:95], v[78:79], v[166:167]
	v_add_f64_e32 v[78:79], v[248:249], v[132:133]
	s_delay_alu instid0(VALU_DEP_3) | instskip(SKIP_1) | instid1(VALU_DEP_3)
	v_add_f64_e32 v[34:35], v[34:35], v[176:177]
	v_mul_f64_e32 v[176:177], s[36:37], v[74:75]
	v_fma_f64 v[100:101], v[78:79], s[14:15], -v[104:105]
	v_fma_f64 v[104:105], v[78:79], s[14:15], v[104:105]
	s_delay_alu instid0(VALU_DEP_2) | instskip(SKIP_2) | instid1(VALU_DEP_4)
	v_add_f64_e32 v[106:107], v[100:101], v[92:93]
	v_fma_f64 v[92:93], v[16:17], s[14:15], v[188:189]
	v_dual_mov_b32 v100, v128 :: v_dual_mov_b32 v101, v129
	v_add_f64_e32 v[32:33], v[104:105], v[32:33]
	v_fma_f64 v[104:105], v[16:17], s[14:15], -v[188:189]
	v_mul_f64_e32 v[188:189], s[28:29], v[84:85]
	v_add_f64_e32 v[124:125], v[92:93], v[94:95]
	v_add_f64_e32 v[94:95], v[100:101], v[238:239]
	v_add_f64_e64 v[100:101], v[100:101], -v[238:239]
	v_add_f64_e32 v[92:93], v[130:131], v[236:237]
	v_dual_mov_b32 v130, v194 :: v_dual_mov_b32 v131, v195
	v_add_f64_e32 v[34:35], v[104:105], v[34:35]
	s_delay_alu instid0(VALU_DEP_2) | instskip(SKIP_4) | instid1(VALU_DEP_4)
	v_add_f64_e32 v[128:129], v[130:131], v[246:247]
	v_fma_f64 v[126:127], v[94:95], s[16:17], -v[190:191]
	v_mul_f64_e32 v[192:193], s[36:37], v[100:101]
	v_fma_f64 v[104:105], v[94:95], s[16:17], v[190:191]
	v_mul_f64_e32 v[190:191], s[38:39], v[102:103]
	v_add_f64_e32 v[106:107], v[126:127], v[106:107]
	s_delay_alu instid0(VALU_DEP_4) | instskip(NEXT) | instid1(VALU_DEP_4)
	v_fma_f64 v[126:127], v[92:93], s[16:17], v[192:193]
	v_add_f64_e32 v[32:33], v[104:105], v[32:33]
	v_fma_f64 v[104:105], v[92:93], s[16:17], -v[192:193]
	v_mul_f64_e32 v[192:193], s[38:39], v[100:101]
	s_delay_alu instid0(VALU_DEP_4) | instskip(SKIP_3) | instid1(VALU_DEP_2)
	v_add_f64_e32 v[132:133], v[126:127], v[124:125]
	v_add_f64_e64 v[126:127], v[130:131], -v[246:247]
	v_dual_mov_b32 v124, v186 :: v_dual_mov_b32 v125, v187
	v_add_f64_e32 v[34:35], v[104:105], v[34:35]
	v_add_f64_e32 v[130:131], v[124:125], v[244:245]
	v_add_f64_e64 v[124:125], v[124:125], -v[244:245]
	v_mul_f64_e32 v[194:195], s[22:23], v[126:127]
	s_delay_alu instid0(VALU_DEP_2) | instskip(NEXT) | instid1(VALU_DEP_2)
	v_mul_f64_e32 v[196:197], s[22:23], v[124:125]
	v_fma_f64 v[134:135], v[130:131], s[18:19], -v[194:195]
	v_fma_f64 v[104:105], v[130:131], s[18:19], v[194:195]
	v_mul_f64_e32 v[194:195], s[54:55], v[126:127]
	s_delay_alu instid0(VALU_DEP_3) | instskip(SKIP_1) | instid1(VALU_DEP_4)
	v_add_f64_e32 v[106:107], v[134:135], v[106:107]
	v_fma_f64 v[134:135], v[128:129], s[18:19], v[196:197]
	v_add_f64_e32 v[32:33], v[104:105], v[32:33]
	v_fma_f64 v[104:105], v[128:129], s[18:19], -v[196:197]
	v_mul_f64_e32 v[196:197], s[54:55], v[124:125]
	s_delay_alu instid0(VALU_DEP_4) | instskip(SKIP_4) | instid1(VALU_DEP_2)
	v_add_f64_e32 v[156:157], v[134:135], v[132:133]
	v_mov_b32_e32 v132, v178
	v_dual_mov_b32 v134, v184 :: v_dual_mov_b32 v133, v179
	v_mov_b32_e32 v135, v185
	v_add_f64_e32 v[34:35], v[104:105], v[34:35]
	v_add_f64_e64 v[150:151], v[132:133], -v[134:135]
	v_add_f64_e32 v[132:133], v[132:133], v[134:135]
	v_add_f64_e32 v[134:135], v[148:149], v[158:159]
	v_add_f64_e64 v[148:149], v[148:149], -v[158:159]
	s_delay_alu instid0(VALU_DEP_4) | instskip(NEXT) | instid1(VALU_DEP_2)
	v_mul_f64_e32 v[198:199], s[28:29], v[150:151]
	v_mul_f64_e32 v[200:201], s[28:29], v[148:149]
	s_delay_alu instid0(VALU_DEP_2) | instskip(SKIP_2) | instid1(VALU_DEP_3)
	v_fma_f64 v[158:159], v[134:135], s[20:21], -v[198:199]
	v_fma_f64 v[104:105], v[134:135], s[20:21], v[198:199]
	v_mul_f64_e32 v[198:199], s[50:51], v[150:151]
	v_add_f64_e32 v[106:107], v[158:159], v[106:107]
	v_fma_f64 v[158:159], v[132:133], s[20:21], v[200:201]
	s_delay_alu instid0(VALU_DEP_4) | instskip(SKIP_2) | instid1(VALU_DEP_4)
	v_add_f64_e32 v[32:33], v[104:105], v[32:33]
	v_fma_f64 v[104:105], v[132:133], s[20:21], -v[200:201]
	v_mul_f64_e32 v[200:201], s[50:51], v[148:149]
	v_add_f64_e32 v[172:173], v[158:159], v[156:157]
	v_dual_mov_b32 v156, v174 :: v_dual_mov_b32 v157, v175
	s_delay_alu instid0(VALU_DEP_4) | instskip(NEXT) | instid1(VALU_DEP_2)
	v_add_f64_e32 v[34:35], v[104:105], v[34:35]
	v_add_f64_e64 v[166:167], v[40:41], -v[156:157]
	v_add_f64_e32 v[156:157], v[40:41], v[156:157]
	v_dual_mov_b32 v40, v42 :: v_dual_mov_b32 v41, v43
	s_delay_alu instid0(VALU_DEP_1) | instskip(SKIP_3) | instid1(VALU_DEP_3)
	v_add_f64_e32 v[158:159], v[38:39], v[40:41]
	v_add_f64_e64 v[164:165], v[38:39], -v[40:41]
	v_mov_b32_e32 v41, v21
	v_mul_f64_e32 v[202:203], s[34:35], v[166:167]
	v_mul_f64_e32 v[204:205], s[34:35], v[164:165]
	s_delay_alu instid0(VALU_DEP_2) | instskip(SKIP_2) | instid1(VALU_DEP_3)
	v_fma_f64 v[174:175], v[158:159], s[26:27], -v[202:203]
	v_fma_f64 v[104:105], v[158:159], s[26:27], v[202:203]
	v_mul_f64_e32 v[202:203], s[44:45], v[166:167]
	v_add_f64_e32 v[106:107], v[174:175], v[106:107]
	v_fma_f64 v[174:175], v[156:157], s[26:27], v[204:205]
	s_delay_alu instid0(VALU_DEP_4) | instskip(SKIP_2) | instid1(VALU_DEP_4)
	v_add_f64_e32 v[32:33], v[104:105], v[32:33]
	v_fma_f64 v[104:105], v[156:157], s[26:27], -v[204:205]
	v_mul_f64_e32 v[204:205], s[44:45], v[164:165]
	v_add_f64_e32 v[186:187], v[174:175], v[172:173]
	v_add_f64_e32 v[172:173], v[28:29], v[36:37]
	v_dual_mov_b32 v28, v30 :: v_dual_mov_b32 v29, v31
	v_add_f64_e32 v[34:35], v[104:105], v[34:35]
	s_delay_alu instid0(VALU_DEP_2) | instskip(SKIP_1) | instid1(VALU_DEP_2)
	v_add_f64_e32 v[174:175], v[24:25], v[28:29]
	v_add_f64_e64 v[178:179], v[24:25], -v[28:29]
	v_fma_f64 v[184:185], v[174:175], s[30:31], -v[206:207]
	v_fma_f64 v[104:105], v[174:175], s[30:31], v[206:207]
	v_mul_f64_e32 v[206:207], s[46:47], v[182:183]
	s_delay_alu instid0(VALU_DEP_3) | instskip(SKIP_1) | instid1(VALU_DEP_4)
	v_add_f64_e32 v[184:185], v[184:185], v[106:107]
	v_mul_f64_e32 v[106:107], s[38:39], v[178:179]
	v_add_f64_e32 v[32:33], v[104:105], v[32:33]
	v_mul_f64_e32 v[104:105], s[36:37], v[76:77]
	s_delay_alu instid0(VALU_DEP_3) | instskip(SKIP_1) | instid1(VALU_DEP_2)
	v_fma_f64 v[208:209], v[172:173], s[30:31], v[106:107]
	v_fma_f64 v[106:107], v[172:173], s[30:31], -v[106:107]
	v_add_f64_e32 v[186:187], v[208:209], v[186:187]
	s_delay_alu instid0(VALU_DEP_2) | instskip(SKIP_2) | instid1(VALU_DEP_2)
	v_add_f64_e32 v[34:35], v[106:107], v[34:35]
	v_fma_f64 v[106:107], v[68:69], s[16:17], -v[104:105]
	v_fma_f64 v[104:105], v[68:69], s[16:17], v[104:105]
	v_add_f64_e32 v[106:107], v[106:107], v[170:171]
	v_fma_f64 v[170:171], v[18:19], s[16:17], v[176:177]
	s_delay_alu instid0(VALU_DEP_3) | instskip(SKIP_1) | instid1(VALU_DEP_3)
	v_add_f64_e32 v[104:105], v[104:105], v[162:163]
	v_fma_f64 v[162:163], v[18:19], s[16:17], -v[176:177]
	v_add_f64_e32 v[168:169], v[170:171], v[168:169]
	v_fma_f64 v[170:171], v[78:79], s[20:21], -v[180:181]
	s_delay_alu instid0(VALU_DEP_3) | instskip(SKIP_1) | instid1(VALU_DEP_3)
	v_add_f64_e32 v[160:161], v[162:163], v[160:161]
	v_fma_f64 v[162:163], v[78:79], s[20:21], v[180:181]
	v_add_f64_e32 v[106:107], v[170:171], v[106:107]
	v_fma_f64 v[170:171], v[16:17], s[20:21], v[188:189]
	s_delay_alu instid0(VALU_DEP_3) | instskip(SKIP_1) | instid1(VALU_DEP_3)
	v_add_f64_e32 v[104:105], v[162:163], v[104:105]
	v_fma_f64 v[162:163], v[16:17], s[20:21], -v[188:189]
	v_add_f64_e32 v[168:169], v[170:171], v[168:169]
	v_fma_f64 v[170:171], v[94:95], s[30:31], -v[190:191]
	s_delay_alu instid0(VALU_DEP_3) | instskip(SKIP_1) | instid1(VALU_DEP_3)
	v_add_f64_e32 v[160:161], v[162:163], v[160:161]
	;; [unrolled: 10-line block ×6, first 2 shown]
	v_fma_f64 v[160:161], v[174:175], s[2:3], v[206:207]
	v_add_f64_e32 v[168:169], v[168:169], v[106:107]
	v_mul_f64_e32 v[106:107], s[46:47], v[178:179]
	s_delay_alu instid0(VALU_DEP_3) | instskip(SKIP_1) | instid1(VALU_DEP_3)
	v_add_f64_e32 v[160:161], v[160:161], v[104:105]
	v_mul_f64_e32 v[104:105], s[28:29], v[76:77]
	v_fma_f64 v[208:209], v[172:173], s[2:3], v[106:107]
	v_fma_f64 v[106:107], v[172:173], s[2:3], -v[106:107]
	s_delay_alu instid0(VALU_DEP_2) | instskip(NEXT) | instid1(VALU_DEP_2)
	v_add_f64_e32 v[170:171], v[208:209], v[170:171]
	v_add_f64_e32 v[162:163], v[106:107], v[162:163]
	v_fma_f64 v[106:107], v[68:69], s[20:21], -v[104:105]
	v_fma_f64 v[104:105], v[68:69], s[20:21], v[104:105]
	s_clause 0x5
	scratch_load_b64 v[209:210], off, off offset:2024
	scratch_load_b32 v208, off, off offset:4
	scratch_load_b64 v[36:37], off, off offset:464
	scratch_load_b64 v[30:31], off, off offset:448
	;; [unrolled: 1-line block ×4, first 2 shown]
	v_add_f64_e32 v[106:107], v[106:107], v[154:155]
	v_mul_f64_e32 v[154:155], s[28:29], v[74:75]
	v_add_f64_e32 v[104:105], v[104:105], v[146:147]
	s_delay_alu instid0(VALU_DEP_2) | instskip(SKIP_1) | instid1(VALU_DEP_2)
	v_fma_f64 v[176:177], v[18:19], s[20:21], v[154:155]
	v_fma_f64 v[146:147], v[18:19], s[20:21], -v[154:155]
	v_add_f64_e32 v[152:153], v[176:177], v[152:153]
	v_mul_f64_e32 v[176:177], s[58:59], v[86:87]
	s_delay_alu instid0(VALU_DEP_3) | instskip(NEXT) | instid1(VALU_DEP_2)
	v_add_f64_e32 v[144:145], v[146:147], v[144:145]
	v_fma_f64 v[180:181], v[78:79], s[30:31], -v[176:177]
	v_fma_f64 v[146:147], v[78:79], s[30:31], v[176:177]
	s_delay_alu instid0(VALU_DEP_2) | instskip(SKIP_1) | instid1(VALU_DEP_3)
	v_add_f64_e32 v[106:107], v[180:181], v[106:107]
	v_mul_f64_e32 v[180:181], s[58:59], v[84:85]
	v_add_f64_e32 v[104:105], v[146:147], v[104:105]
	s_delay_alu instid0(VALU_DEP_2) | instskip(SKIP_1) | instid1(VALU_DEP_2)
	v_fma_f64 v[188:189], v[16:17], s[30:31], v[180:181]
	v_fma_f64 v[146:147], v[16:17], s[30:31], -v[180:181]
	v_add_f64_e32 v[152:153], v[188:189], v[152:153]
	v_mul_f64_e32 v[188:189], s[50:51], v[102:103]
	s_delay_alu instid0(VALU_DEP_3) | instskip(NEXT) | instid1(VALU_DEP_2)
	v_add_f64_e32 v[144:145], v[146:147], v[144:145]
	v_fma_f64 v[190:191], v[94:95], s[18:19], -v[188:189]
	v_fma_f64 v[146:147], v[94:95], s[18:19], v[188:189]
	s_delay_alu instid0(VALU_DEP_2) | instskip(SKIP_1) | instid1(VALU_DEP_3)
	;; [unrolled: 13-line block ×5, first 2 shown]
	v_add_f64_e32 v[106:107], v[202:203], v[106:107]
	v_mul_f64_e32 v[202:203], s[36:37], v[164:165]
	v_add_f64_e32 v[104:105], v[146:147], v[104:105]
	s_delay_alu instid0(VALU_DEP_2) | instskip(SKIP_1) | instid1(VALU_DEP_2)
	v_fma_f64 v[204:205], v[156:157], s[16:17], v[202:203]
	v_fma_f64 v[146:147], v[156:157], s[16:17], -v[202:203]
	v_add_f64_e32 v[152:153], v[204:205], v[152:153]
	v_mul_f64_e32 v[204:205], s[34:35], v[182:183]
	s_delay_alu instid0(VALU_DEP_3) | instskip(NEXT) | instid1(VALU_DEP_2)
	v_add_f64_e32 v[144:145], v[146:147], v[144:145]
	v_fma_f64 v[206:207], v[174:175], s[26:27], -v[204:205]
	v_fma_f64 v[146:147], v[174:175], s[26:27], v[204:205]
	scratch_load_b64 v[204:205], off, off offset:2000 ; 8-byte Folded Reload
	v_add_f64_e32 v[223:224], v[206:207], v[106:107]
	v_mul_f64_e32 v[106:107], s[34:35], v[178:179]
	v_add_f64_e32 v[188:189], v[146:147], v[104:105]
	v_mul_f64_e32 v[104:105], s[38:39], v[76:77]
	s_delay_alu instid0(VALU_DEP_3) | instskip(SKIP_1) | instid1(VALU_DEP_2)
	v_fma_f64 v[206:207], v[172:173], s[26:27], v[106:107]
	v_fma_f64 v[106:107], v[172:173], s[26:27], -v[106:107]
	v_add_f64_e32 v[225:226], v[206:207], v[152:153]
	s_delay_alu instid0(VALU_DEP_2)
	v_add_f64_e32 v[190:191], v[106:107], v[144:145]
	v_fma_f64 v[106:107], v[68:69], s[30:31], -v[104:105]
	v_fma_f64 v[104:105], v[68:69], s[30:31], v[104:105]
	scratch_load_b64 v[206:207], off, off offset:2008 ; 8-byte Folded Reload
	v_add_f64_e32 v[106:107], v[106:107], v[142:143]
	v_mul_f64_e32 v[142:143], s[38:39], v[74:75]
	v_add_f64_e32 v[104:105], v[104:105], v[138:139]
	s_delay_alu instid0(VALU_DEP_2) | instskip(SKIP_1) | instid1(VALU_DEP_2)
	v_fma_f64 v[144:145], v[18:19], s[30:31], v[142:143]
	v_fma_f64 v[138:139], v[18:19], s[30:31], -v[142:143]
	v_add_f64_e32 v[140:141], v[144:145], v[140:141]
	v_mul_f64_e32 v[144:145], s[50:51], v[86:87]
	s_delay_alu instid0(VALU_DEP_3) | instskip(NEXT) | instid1(VALU_DEP_2)
	v_add_f64_e32 v[136:137], v[138:139], v[136:137]
	v_fma_f64 v[146:147], v[78:79], s[18:19], -v[144:145]
	v_fma_f64 v[138:139], v[78:79], s[18:19], v[144:145]
	s_delay_alu instid0(VALU_DEP_2) | instskip(SKIP_1) | instid1(VALU_DEP_3)
	v_add_f64_e32 v[106:107], v[146:147], v[106:107]
	v_mul_f64_e32 v[146:147], s[50:51], v[84:85]
	v_add_f64_e32 v[104:105], v[138:139], v[104:105]
	s_delay_alu instid0(VALU_DEP_2) | instskip(SKIP_1) | instid1(VALU_DEP_2)
	v_fma_f64 v[152:153], v[16:17], s[18:19], v[146:147]
	v_fma_f64 v[138:139], v[16:17], s[18:19], -v[146:147]
	v_add_f64_e32 v[140:141], v[152:153], v[140:141]
	v_mul_f64_e32 v[152:153], s[46:47], v[102:103]
	s_delay_alu instid0(VALU_DEP_3) | instskip(NEXT) | instid1(VALU_DEP_2)
	v_add_f64_e32 v[136:137], v[138:139], v[136:137]
	v_fma_f64 v[154:155], v[94:95], s[2:3], -v[152:153]
	v_fma_f64 v[138:139], v[94:95], s[2:3], v[152:153]
	s_delay_alu instid0(VALU_DEP_2) | instskip(SKIP_1) | instid1(VALU_DEP_3)
	v_add_f64_e32 v[106:107], v[154:155], v[106:107]
	v_mul_f64_e32 v[154:155], s[46:47], v[100:101]
	v_add_f64_e32 v[104:105], v[138:139], v[104:105]
	s_delay_alu instid0(VALU_DEP_2) | instskip(SKIP_1) | instid1(VALU_DEP_2)
	v_fma_f64 v[176:177], v[92:93], s[2:3], v[154:155]
	v_fma_f64 v[138:139], v[92:93], s[2:3], -v[154:155]
	v_add_f64_e32 v[140:141], v[176:177], v[140:141]
	v_mul_f64_e32 v[176:177], s[42:43], v[126:127]
	s_delay_alu instid0(VALU_DEP_3) | instskip(NEXT) | instid1(VALU_DEP_2)
	v_add_f64_e32 v[136:137], v[138:139], v[136:137]
	v_fma_f64 v[180:181], v[130:131], s[14:15], -v[176:177]
	v_fma_f64 v[138:139], v[130:131], s[14:15], v[176:177]
	s_delay_alu instid0(VALU_DEP_2) | instskip(SKIP_1) | instid1(VALU_DEP_3)
	v_add_f64_e32 v[106:107], v[180:181], v[106:107]
	v_mul_f64_e32 v[180:181], s[42:43], v[124:125]
	v_add_f64_e32 v[104:105], v[138:139], v[104:105]
	s_delay_alu instid0(VALU_DEP_2) | instskip(SKIP_1) | instid1(VALU_DEP_2)
	v_fma_f64 v[192:193], v[128:129], s[14:15], v[180:181]
	v_fma_f64 v[138:139], v[128:129], s[14:15], -v[180:181]
	v_add_f64_e32 v[140:141], v[192:193], v[140:141]
	v_mul_f64_e32 v[192:193], s[34:35], v[150:151]
	s_delay_alu instid0(VALU_DEP_3) | instskip(NEXT) | instid1(VALU_DEP_2)
	v_add_f64_e32 v[136:137], v[138:139], v[136:137]
	v_fma_f64 v[194:195], v[134:135], s[26:27], -v[192:193]
	v_fma_f64 v[138:139], v[134:135], s[26:27], v[192:193]
	s_delay_alu instid0(VALU_DEP_2) | instskip(SKIP_1) | instid1(VALU_DEP_3)
	v_add_f64_e32 v[106:107], v[194:195], v[106:107]
	v_mul_f64_e32 v[194:195], s[34:35], v[148:149]
	v_add_f64_e32 v[104:105], v[138:139], v[104:105]
	s_delay_alu instid0(VALU_DEP_2) | instskip(SKIP_1) | instid1(VALU_DEP_2)
	v_fma_f64 v[196:197], v[132:133], s[26:27], v[194:195]
	v_fma_f64 v[138:139], v[132:133], s[26:27], -v[194:195]
	v_add_f64_e32 v[140:141], v[196:197], v[140:141]
	v_mul_f64_e32 v[196:197], s[56:57], v[166:167]
	s_delay_alu instid0(VALU_DEP_3) | instskip(NEXT) | instid1(VALU_DEP_2)
	v_add_f64_e32 v[136:137], v[138:139], v[136:137]
	v_fma_f64 v[198:199], v[158:159], s[20:21], -v[196:197]
	v_fma_f64 v[138:139], v[158:159], s[20:21], v[196:197]
	s_delay_alu instid0(VALU_DEP_2) | instskip(SKIP_1) | instid1(VALU_DEP_3)
	v_add_f64_e32 v[106:107], v[198:199], v[106:107]
	v_mul_f64_e32 v[198:199], s[56:57], v[164:165]
	v_add_f64_e32 v[104:105], v[138:139], v[104:105]
	s_delay_alu instid0(VALU_DEP_2) | instskip(SKIP_1) | instid1(VALU_DEP_2)
	v_fma_f64 v[200:201], v[156:157], s[20:21], v[198:199]
	v_fma_f64 v[138:139], v[156:157], s[20:21], -v[198:199]
	v_add_f64_e32 v[140:141], v[200:201], v[140:141]
	v_mul_f64_e32 v[200:201], s[48:49], v[182:183]
	s_delay_alu instid0(VALU_DEP_3) | instskip(NEXT) | instid1(VALU_DEP_2)
	v_add_f64_e32 v[136:137], v[138:139], v[136:137]
	v_fma_f64 v[202:203], v[174:175], s[12:13], -v[200:201]
	v_fma_f64 v[138:139], v[174:175], s[12:13], v[200:201]
	s_delay_alu instid0(VALU_DEP_2) | instskip(SKIP_1) | instid1(VALU_DEP_3)
	v_add_f64_e32 v[236:237], v[202:203], v[106:107]
	v_mul_f64_e32 v[106:107], s[48:49], v[178:179]
	v_add_f64_e32 v[232:233], v[138:139], v[104:105]
	v_mul_f64_e32 v[104:105], s[54:55], v[76:77]
	s_delay_alu instid0(VALU_DEP_3) | instskip(SKIP_1) | instid1(VALU_DEP_2)
	v_fma_f64 v[202:203], v[172:173], s[12:13], v[106:107]
	v_fma_f64 v[106:107], v[172:173], s[12:13], -v[106:107]
	v_add_f64_e32 v[238:239], v[202:203], v[140:141]
	s_delay_alu instid0(VALU_DEP_2) | instskip(SKIP_2) | instid1(VALU_DEP_2)
	v_add_f64_e32 v[234:235], v[106:107], v[136:137]
	v_fma_f64 v[106:107], v[68:69], s[26:27], -v[104:105]
	v_fma_f64 v[104:105], v[68:69], s[26:27], v[104:105]
	v_add_f64_e32 v[106:107], v[106:107], v[122:123]
	v_mul_f64_e32 v[122:123], s[54:55], v[74:75]
	s_delay_alu instid0(VALU_DEP_3) | instskip(NEXT) | instid1(VALU_DEP_2)
	v_add_f64_e32 v[104:105], v[104:105], v[118:119]
	v_fma_f64 v[136:137], v[18:19], s[26:27], v[122:123]
	v_fma_f64 v[118:119], v[18:19], s[26:27], -v[122:123]
	s_delay_alu instid0(VALU_DEP_2) | instskip(SKIP_1) | instid1(VALU_DEP_3)
	v_add_f64_e32 v[120:121], v[136:137], v[120:121]
	v_mul_f64_e32 v[136:137], s[48:49], v[86:87]
	v_add_f64_e32 v[116:117], v[118:119], v[116:117]
	s_delay_alu instid0(VALU_DEP_2) | instskip(SKIP_1) | instid1(VALU_DEP_2)
	v_fma_f64 v[138:139], v[78:79], s[12:13], -v[136:137]
	v_fma_f64 v[118:119], v[78:79], s[12:13], v[136:137]
	v_add_f64_e32 v[106:107], v[138:139], v[106:107]
	v_mul_f64_e32 v[138:139], s[48:49], v[84:85]
	s_delay_alu instid0(VALU_DEP_3) | instskip(NEXT) | instid1(VALU_DEP_2)
	v_add_f64_e32 v[104:105], v[118:119], v[104:105]
	v_fma_f64 v[140:141], v[16:17], s[12:13], v[138:139]
	v_fma_f64 v[118:119], v[16:17], s[12:13], -v[138:139]
	s_delay_alu instid0(VALU_DEP_2) | instskip(SKIP_1) | instid1(VALU_DEP_3)
	v_add_f64_e32 v[120:121], v[140:141], v[120:121]
	v_mul_f64_e32 v[140:141], s[42:43], v[102:103]
	v_add_f64_e32 v[116:117], v[118:119], v[116:117]
	s_delay_alu instid0(VALU_DEP_2) | instskip(SKIP_1) | instid1(VALU_DEP_2)
	;; [unrolled: 13-line block ×6, first 2 shown]
	v_fma_f64 v[194:195], v[174:175], s[20:21], -v[192:193]
	v_fma_f64 v[118:119], v[174:175], s[20:21], v[192:193]
	v_add_f64_e32 v[240:241], v[194:195], v[106:107]
	v_mul_f64_e32 v[106:107], s[28:29], v[178:179]
	s_delay_alu instid0(VALU_DEP_3) | instskip(SKIP_1) | instid1(VALU_DEP_3)
	v_add_f64_e32 v[244:245], v[118:119], v[104:105]
	v_mul_f64_e32 v[104:105], s[50:51], v[76:77]
	v_fma_f64 v[194:195], v[172:173], s[20:21], v[106:107]
	v_fma_f64 v[106:107], v[172:173], s[20:21], -v[106:107]
	s_delay_alu instid0(VALU_DEP_2) | instskip(NEXT) | instid1(VALU_DEP_2)
	v_add_f64_e32 v[242:243], v[194:195], v[120:121]
	v_add_f64_e32 v[246:247], v[106:107], v[116:117]
	v_fma_f64 v[106:107], v[68:69], s[18:19], -v[104:105]
	s_delay_alu instid0(VALU_DEP_1) | instskip(SKIP_1) | instid1(VALU_DEP_1)
	v_add_f64_e32 v[98:99], v[106:107], v[98:99]
	v_mul_f64_e32 v[106:107], s[50:51], v[74:75]
	v_fma_f64 v[116:117], v[18:19], s[18:19], v[106:107]
	s_delay_alu instid0(VALU_DEP_1) | instskip(SKIP_1) | instid1(VALU_DEP_1)
	v_add_f64_e32 v[96:97], v[116:117], v[96:97]
	v_mul_f64_e32 v[116:117], s[24:25], v[86:87]
	v_fma_f64 v[118:119], v[78:79], s[2:3], -v[116:117]
	s_delay_alu instid0(VALU_DEP_1) | instskip(SKIP_1) | instid1(VALU_DEP_1)
	v_add_f64_e32 v[98:99], v[118:119], v[98:99]
	v_mul_f64_e32 v[118:119], s[24:25], v[84:85]
	v_fma_f64 v[120:121], v[16:17], s[2:3], v[118:119]
	s_delay_alu instid0(VALU_DEP_1) | instskip(SKIP_1) | instid1(VALU_DEP_1)
	v_add_f64_e32 v[96:97], v[120:121], v[96:97]
	v_mul_f64_e32 v[120:121], s[34:35], v[102:103]
	;; [unrolled: 8-line block ×6, first 2 shown]
	v_fma_f64 v[154:155], v[174:175], s[14:15], -v[152:153]
	s_delay_alu instid0(VALU_DEP_1) | instskip(SKIP_1) | instid1(VALU_DEP_1)
	v_add_f64_e32 v[248:249], v[154:155], v[98:99]
	v_mul_f64_e32 v[98:99], s[44:45], v[178:179]
	v_fma_f64 v[154:155], v[172:173], s[14:15], v[98:99]
	v_fma_f64 v[98:99], v[172:173], s[14:15], -v[98:99]
	s_delay_alu instid0(VALU_DEP_2) | instskip(SKIP_1) | instid1(VALU_DEP_1)
	v_add_f64_e32 v[250:251], v[154:155], v[96:97]
	v_fma_f64 v[96:97], v[68:69], s[18:19], v[104:105]
	v_add_f64_e32 v[90:91], v[96:97], v[90:91]
	v_fma_f64 v[96:97], v[18:19], s[18:19], -v[106:107]
	s_delay_alu instid0(VALU_DEP_1) | instskip(SKIP_1) | instid1(VALU_DEP_1)
	v_add_f64_e32 v[88:89], v[96:97], v[88:89]
	v_fma_f64 v[96:97], v[78:79], s[2:3], v[116:117]
	v_add_f64_e32 v[90:91], v[96:97], v[90:91]
	v_fma_f64 v[96:97], v[16:17], s[2:3], -v[118:119]
	s_delay_alu instid0(VALU_DEP_1) | instskip(SKIP_1) | instid1(VALU_DEP_1)
	v_add_f64_e32 v[88:89], v[96:97], v[88:89]
	v_fma_f64 v[96:97], v[94:95], s[26:27], v[120:121]
	v_add_f64_e32 v[90:91], v[96:97], v[90:91]
	v_fma_f64 v[96:97], v[92:93], s[26:27], -v[122:123]
	s_delay_alu instid0(VALU_DEP_1) | instskip(SKIP_2) | instid1(VALU_DEP_2)
	v_add_f64_e32 v[88:89], v[96:97], v[88:89]
	v_fma_f64 v[96:97], v[130:131], s[16:17], v[136:137]
	v_mul_f64_e32 v[136:137], s[24:25], v[126:127]
	v_add_f64_e32 v[90:91], v[96:97], v[90:91]
	v_fma_f64 v[96:97], v[128:129], s[16:17], -v[138:139]
	v_mul_f64_e32 v[138:139], s[24:25], v[124:125]
	s_delay_alu instid0(VALU_DEP_2) | instskip(SKIP_2) | instid1(VALU_DEP_2)
	v_add_f64_e32 v[88:89], v[96:97], v[88:89]
	v_fma_f64 v[96:97], v[134:135], s[12:13], v[140:141]
	v_mul_f64_e32 v[140:141], s[38:39], v[150:151]
	v_add_f64_e32 v[90:91], v[96:97], v[90:91]
	v_fma_f64 v[96:97], v[132:133], s[12:13], -v[142:143]
	v_mul_f64_e32 v[142:143], s[38:39], v[148:149]
	s_delay_alu instid0(VALU_DEP_2) | instskip(SKIP_2) | instid1(VALU_DEP_2)
	v_add_f64_e32 v[88:89], v[96:97], v[88:89]
	v_fma_f64 v[96:97], v[158:159], s[30:31], v[144:145]
	v_mul_f64_e32 v[144:145], s[48:49], v[166:167]
	v_add_f64_e32 v[90:91], v[96:97], v[90:91]
	v_fma_f64 v[96:97], v[156:157], s[30:31], -v[146:147]
	v_mul_f64_e32 v[146:147], s[48:49], v[164:165]
	s_delay_alu instid0(VALU_DEP_2) | instskip(SKIP_2) | instid1(VALU_DEP_3)
	v_add_f64_e32 v[88:89], v[96:97], v[88:89]
	v_fma_f64 v[96:97], v[174:175], s[14:15], v[152:153]
	v_mul_f64_e32 v[152:153], s[22:23], v[182:183]
	v_add_f64_e32 v[118:119], v[98:99], v[88:89]
	v_mul_f64_e32 v[88:89], s[44:45], v[76:77]
	s_delay_alu instid0(VALU_DEP_4) | instskip(SKIP_1) | instid1(VALU_DEP_3)
	v_add_f64_e32 v[116:117], v[96:97], v[90:91]
	v_mul_f64_e32 v[76:77], s[46:47], v[76:77]
	v_fma_f64 v[90:91], v[68:69], s[14:15], -v[88:89]
	s_delay_alu instid0(VALU_DEP_1) | instskip(SKIP_2) | instid1(VALU_DEP_2)
	v_add_f64_e32 v[82:83], v[90:91], v[82:83]
	v_mul_f64_e32 v[90:91], s[44:45], v[74:75]
	v_mul_f64_e32 v[74:75], s[46:47], v[74:75]
	v_fma_f64 v[96:97], v[18:19], s[14:15], v[90:91]
	s_delay_alu instid0(VALU_DEP_1) | instskip(SKIP_1) | instid1(VALU_DEP_1)
	v_add_f64_e32 v[80:81], v[96:97], v[80:81]
	v_mul_f64_e32 v[96:97], s[36:37], v[86:87]
	v_fma_f64 v[98:99], v[78:79], s[16:17], -v[96:97]
	s_delay_alu instid0(VALU_DEP_1) | instskip(SKIP_1) | instid1(VALU_DEP_1)
	v_add_f64_e32 v[82:83], v[98:99], v[82:83]
	v_mul_f64_e32 v[98:99], s[36:37], v[84:85]
	v_fma_f64 v[104:105], v[16:17], s[16:17], v[98:99]
	s_delay_alu instid0(VALU_DEP_1) | instskip(SKIP_1) | instid1(VALU_DEP_1)
	v_add_f64_e32 v[80:81], v[104:105], v[80:81]
	v_mul_f64_e32 v[104:105], s[56:57], v[102:103]
	v_fma_f64 v[106:107], v[94:95], s[20:21], -v[104:105]
	s_delay_alu instid0(VALU_DEP_1) | instskip(SKIP_1) | instid1(VALU_DEP_1)
	v_add_f64_e32 v[82:83], v[106:107], v[82:83]
	v_mul_f64_e32 v[106:107], s[56:57], v[100:101]
	v_fma_f64 v[120:121], v[92:93], s[20:21], v[106:107]
	s_delay_alu instid0(VALU_DEP_1) | instskip(SKIP_1) | instid1(VALU_DEP_1)
	v_add_f64_e32 v[80:81], v[120:121], v[80:81]
	v_fma_f64 v[120:121], v[130:131], s[2:3], -v[136:137]
	v_add_f64_e32 v[82:83], v[120:121], v[82:83]
	v_fma_f64 v[120:121], v[128:129], s[2:3], v[138:139]
	s_delay_alu instid0(VALU_DEP_1) | instskip(SKIP_1) | instid1(VALU_DEP_1)
	v_add_f64_e32 v[80:81], v[120:121], v[80:81]
	v_fma_f64 v[120:121], v[134:135], s[30:31], -v[140:141]
	v_add_f64_e32 v[82:83], v[120:121], v[82:83]
	;; [unrolled: 5-line block ×4, first 2 shown]
	v_mul_f64_e32 v[82:83], s[22:23], v[178:179]
	s_delay_alu instid0(VALU_DEP_1) | instskip(SKIP_1) | instid1(VALU_DEP_2)
	v_fma_f64 v[122:123], v[172:173], s[18:19], v[82:83]
	v_fma_f64 v[82:83], v[172:173], s[18:19], -v[82:83]
	v_add_f64_e32 v[122:123], v[122:123], v[80:81]
	v_fma_f64 v[80:81], v[68:69], s[14:15], v[88:89]
	s_delay_alu instid0(VALU_DEP_1) | instskip(SKIP_1) | instid1(VALU_DEP_1)
	v_add_f64_e32 v[6:7], v[80:81], v[6:7]
	v_fma_f64 v[80:81], v[18:19], s[14:15], -v[90:91]
	v_add_f64_e32 v[4:5], v[80:81], v[4:5]
	v_fma_f64 v[80:81], v[78:79], s[16:17], v[96:97]
	s_delay_alu instid0(VALU_DEP_1) | instskip(SKIP_1) | instid1(VALU_DEP_1)
	v_add_f64_e32 v[6:7], v[80:81], v[6:7]
	v_fma_f64 v[80:81], v[16:17], s[16:17], -v[98:99]
	v_add_f64_e32 v[4:5], v[80:81], v[4:5]
	v_fma_f64 v[80:81], v[94:95], s[20:21], v[104:105]
	s_delay_alu instid0(VALU_DEP_1) | instskip(SKIP_2) | instid1(VALU_DEP_2)
	v_add_f64_e32 v[6:7], v[80:81], v[6:7]
	v_fma_f64 v[80:81], v[92:93], s[20:21], -v[106:107]
	v_mul_f64_e32 v[106:107], s[52:53], v[178:179]
	v_add_f64_e32 v[4:5], v[80:81], v[4:5]
	v_fma_f64 v[80:81], v[130:131], s[2:3], v[136:137]
	s_delay_alu instid0(VALU_DEP_1) | instskip(SKIP_1) | instid1(VALU_DEP_1)
	v_add_f64_e32 v[6:7], v[80:81], v[6:7]
	v_fma_f64 v[80:81], v[128:129], s[2:3], -v[138:139]
	v_add_f64_e32 v[4:5], v[80:81], v[4:5]
	v_fma_f64 v[80:81], v[134:135], s[30:31], v[140:141]
	s_delay_alu instid0(VALU_DEP_1) | instskip(SKIP_1) | instid1(VALU_DEP_1)
	v_add_f64_e32 v[6:7], v[80:81], v[6:7]
	v_fma_f64 v[80:81], v[132:133], s[30:31], -v[142:143]
	;; [unrolled: 5-line block ×3, first 2 shown]
	v_add_f64_e32 v[80:81], v[80:81], v[4:5]
	v_fma_f64 v[4:5], v[174:175], s[18:19], v[152:153]
	s_delay_alu instid0(VALU_DEP_1) | instskip(NEXT) | instid1(VALU_DEP_3)
	v_add_f64_e32 v[4:5], v[4:5], v[6:7]
	v_add_f64_e32 v[6:7], v[82:83], v[80:81]
	v_fma_f64 v[80:81], v[68:69], s[2:3], -v[76:77]
	v_fma_f64 v[68:69], v[68:69], s[2:3], v[76:77]
	s_wait_loadcnt 0x3
	v_add_f64_e64 v[76:77], v[209:210], -v[28:29]
	s_delay_alu instid0(VALU_DEP_3)
	v_add_f64_e32 v[72:73], v[80:81], v[72:73]
	v_fma_f64 v[80:81], v[18:19], s[2:3], v[74:75]
	v_fma_f64 v[18:19], v[18:19], s[2:3], -v[74:75]
	v_add_f64_e32 v[8:9], v[68:69], v[8:9]
	s_wait_loadcnt 0x1
	v_add_f64_e64 v[74:75], v[204:205], -v[30:31]
	s_delay_alu instid0(VALU_DEP_4) | instskip(SKIP_2) | instid1(VALU_DEP_2)
	v_add_f64_e32 v[70:71], v[80:81], v[70:71]
	v_mul_f64_e32 v[80:81], s[34:35], v[86:87]
	v_add_f64_e32 v[10:11], v[18:19], v[10:11]
	v_fma_f64 v[82:83], v[78:79], s[26:27], -v[80:81]
	v_fma_f64 v[18:19], v[78:79], s[26:27], v[80:81]
	s_wait_loadcnt 0x0
	v_add_f64_e64 v[78:79], v[206:207], -v[24:25]
	s_delay_alu instid0(VALU_DEP_3) | instskip(SKIP_1) | instid1(VALU_DEP_4)
	v_add_f64_e32 v[72:73], v[82:83], v[72:73]
	v_mul_f64_e32 v[82:83], s[34:35], v[84:85]
	v_add_f64_e32 v[8:9], v[18:19], v[8:9]
	s_delay_alu instid0(VALU_DEP_4) | instskip(NEXT) | instid1(VALU_DEP_3)
	v_mul_f64_e32 v[154:155], s[40:41], v[78:79]
	v_fma_f64 v[84:85], v[16:17], s[26:27], v[82:83]
	v_fma_f64 v[16:17], v[16:17], s[26:27], -v[82:83]
	s_delay_alu instid0(VALU_DEP_2) | instskip(SKIP_1) | instid1(VALU_DEP_3)
	v_add_f64_e32 v[70:71], v[84:85], v[70:71]
	v_mul_f64_e32 v[84:85], s[48:49], v[102:103]
	v_add_f64_e32 v[10:11], v[16:17], v[10:11]
	s_delay_alu instid0(VALU_DEP_2) | instskip(SKIP_1) | instid1(VALU_DEP_2)
	v_fma_f64 v[86:87], v[94:95], s[12:13], -v[84:85]
	v_fma_f64 v[16:17], v[94:95], s[12:13], v[84:85]
	v_add_f64_e32 v[72:73], v[86:87], v[72:73]
	v_mul_f64_e32 v[86:87], s[48:49], v[100:101]
	s_delay_alu instid0(VALU_DEP_3) | instskip(NEXT) | instid1(VALU_DEP_2)
	v_add_f64_e32 v[8:9], v[16:17], v[8:9]
	v_fma_f64 v[88:89], v[92:93], s[12:13], v[86:87]
	v_fma_f64 v[18:19], v[92:93], s[12:13], -v[86:87]
	s_delay_alu instid0(VALU_DEP_2) | instskip(SKIP_1) | instid1(VALU_DEP_3)
	v_add_f64_e32 v[70:71], v[88:89], v[70:71]
	v_mul_f64_e32 v[88:89], s[28:29], v[126:127]
	v_add_f64_e32 v[10:11], v[18:19], v[10:11]
	s_delay_alu instid0(VALU_DEP_2) | instskip(SKIP_1) | instid1(VALU_DEP_2)
	v_fma_f64 v[90:91], v[130:131], s[20:21], -v[88:89]
	v_fma_f64 v[16:17], v[130:131], s[20:21], v[88:89]
	v_add_f64_e32 v[72:73], v[90:91], v[72:73]
	v_mul_f64_e32 v[90:91], s[28:29], v[124:125]
	s_delay_alu instid0(VALU_DEP_3) | instskip(NEXT) | instid1(VALU_DEP_2)
	v_add_f64_e32 v[8:9], v[16:17], v[8:9]
	;; [unrolled: 13-line block ×4, first 2 shown]
	v_fma_f64 v[104:105], v[156:157], s[18:19], v[102:103]
	v_fma_f64 v[18:19], v[156:157], s[18:19], -v[102:103]
	s_delay_alu instid0(VALU_DEP_2) | instskip(SKIP_1) | instid1(VALU_DEP_3)
	v_add_f64_e32 v[70:71], v[104:105], v[70:71]
	v_mul_f64_e32 v[104:105], s[52:53], v[182:183]
	v_add_f64_e32 v[10:11], v[18:19], v[10:11]
	v_fma_f64 v[18:19], v[172:173], s[16:17], -v[106:107]
	s_delay_alu instid0(VALU_DEP_3) | instskip(SKIP_1) | instid1(VALU_DEP_3)
	v_fma_f64 v[16:17], v[174:175], s[16:17], v[104:105]
	v_fma_f64 v[124:125], v[174:175], s[16:17], -v[104:105]
	v_add_f64_e32 v[10:11], v[18:19], v[10:11]
	v_add_f64_e64 v[18:19], v[219:220], -v[36:37]
	v_mul_f64_e32 v[104:105], s[40:41], v[76:77]
	v_add_f64_e32 v[8:9], v[16:17], v[8:9]
	v_add_f64_e32 v[16:17], v[204:205], v[30:31]
	;; [unrolled: 1-line block ×3, first 2 shown]
	v_mul_f64_e32 v[144:145], s[24:25], v[18:19]
	v_fma_f64 v[72:73], v[172:173], s[16:17], v[106:107]
	v_dual_mov_b32 v30, v36 :: v_dual_mov_b32 v31, v37
	v_mul_f64_e32 v[106:107], s[24:25], v[74:75]
	s_delay_alu instid0(VALU_DEP_4) | instskip(NEXT) | instid1(VALU_DEP_4)
	v_fma_f64 v[68:69], v[16:17], s[2:3], -v[144:145]
	v_add_f64_e32 v[126:127], v[72:73], v[70:71]
	v_fma_f64 v[144:145], v[16:17], s[2:3], v[144:145]
	s_delay_alu instid0(VALU_DEP_3)
	v_add_f64_e32 v[70:71], v[228:229], v[68:69]
	v_add_f64_e32 v[68:69], v[206:207], v[24:25]
	v_dual_mov_b32 v24, v28 :: v_dual_mov_b32 v25, v29
	scratch_load_b64 v[28:29], off, off offset:400 ; 8-byte Folded Reload
	v_add_f64_e32 v[144:145], v[228:229], v[144:145]
	v_fma_f64 v[72:73], v[68:69], s[12:13], -v[104:105]
	v_fma_f64 v[104:105], v[68:69], s[12:13], v[104:105]
	s_delay_alu instid0(VALU_DEP_2) | instskip(SKIP_1) | instid1(VALU_DEP_3)
	v_add_f64_e32 v[82:83], v[72:73], v[70:71]
	v_add_f64_e32 v[70:71], v[219:220], v[30:31]
	;; [unrolled: 1-line block ×3, first 2 shown]
	s_delay_alu instid0(VALU_DEP_2) | instskip(SKIP_1) | instid1(VALU_DEP_2)
	v_fma_f64 v[72:73], v[70:71], s[2:3], v[106:107]
	v_fma_f64 v[106:107], v[70:71], s[2:3], -v[106:107]
	v_add_f64_e32 v[80:81], v[230:231], v[72:73]
	v_add_f64_e32 v[72:73], v[209:210], v[24:25]
	scratch_load_b64 v[24:25], off, off offset:384 ; 8-byte Folded Reload
	v_add_f64_e32 v[106:107], v[230:231], v[106:107]
	v_fma_f64 v[84:85], v[72:73], s[12:13], v[154:155]
	v_fma_f64 v[144:145], v[72:73], s[12:13], -v[154:155]
	s_delay_alu instid0(VALU_DEP_2) | instskip(NEXT) | instid1(VALU_DEP_2)
	v_add_f64_e32 v[88:89], v[84:85], v[80:81]
	v_add_f64_e32 v[106:107], v[144:145], v[106:107]
	s_wait_loadcnt 0x1
	v_add_f64_e64 v[84:85], v[213:214], -v[28:29]
	s_delay_alu instid0(VALU_DEP_1) | instskip(SKIP_2) | instid1(VALU_DEP_1)
	v_mul_f64_e32 v[156:157], s[42:43], v[84:85]
	s_wait_loadcnt 0x0
	v_add_f64_e32 v[80:81], v[211:212], v[24:25]
	v_fma_f64 v[86:87], v[80:81], s[14:15], -v[156:157]
	v_fma_f64 v[144:145], v[80:81], s[14:15], v[156:157]
	s_delay_alu instid0(VALU_DEP_2)
	v_add_f64_e32 v[90:91], v[86:87], v[82:83]
	v_add_f64_e32 v[82:83], v[213:214], v[28:29]
	scratch_load_b64 v[28:29], off, off offset:368 ; 8-byte Folded Reload
	v_add_f64_e64 v[86:87], v[211:212], -v[24:25]
	scratch_load_b64 v[24:25], off, off offset:352 ; 8-byte Folded Reload
	v_add_f64_e32 v[104:105], v[144:145], v[104:105]
	v_mul_f64_e32 v[158:159], s[42:43], v[86:87]
	s_delay_alu instid0(VALU_DEP_1) | instskip(SKIP_2) | instid1(VALU_DEP_3)
	v_fma_f64 v[92:93], v[82:83], s[14:15], v[158:159]
	v_fma_f64 v[144:145], v[82:83], s[14:15], -v[158:159]
	v_mul_f64_e32 v[158:159], s[36:37], v[78:79]
	v_add_f64_e32 v[96:97], v[92:93], v[88:89]
	s_delay_alu instid0(VALU_DEP_3) | instskip(SKIP_4) | instid1(VALU_DEP_2)
	v_add_f64_e32 v[106:107], v[144:145], v[106:107]
	s_wait_loadcnt 0x1
	v_add_f64_e64 v[92:93], v[217:218], -v[28:29]
	s_wait_loadcnt 0x0
	v_add_f64_e32 v[88:89], v[215:216], v[24:25]
	v_mul_f64_e32 v[164:165], s[36:37], v[92:93]
	s_delay_alu instid0(VALU_DEP_1) | instskip(SKIP_2) | instid1(VALU_DEP_3)
	v_fma_f64 v[94:95], v[88:89], s[16:17], -v[164:165]
	v_fma_f64 v[144:145], v[88:89], s[16:17], v[164:165]
	v_fma_f64 v[164:165], v[72:73], s[16:17], v[158:159]
	v_add_f64_e32 v[98:99], v[94:95], v[90:91]
	v_add_f64_e64 v[94:95], v[215:216], -v[24:25]
	v_add_f64_e32 v[90:91], v[217:218], v[28:29]
	s_clause 0x1
	scratch_load_b64 v[24:25], off, off offset:1872
	scratch_load_b64 v[28:29], off, off offset:1896
	v_dual_mov_b32 v217, v221 :: v_dual_mov_b32 v218, v222
	v_add_f64_e32 v[104:105], v[144:145], v[104:105]
	v_mul_f64_e32 v[166:167], s[36:37], v[94:95]
	s_delay_alu instid0(VALU_DEP_1) | instskip(SKIP_1) | instid1(VALU_DEP_2)
	v_fma_f64 v[100:101], v[90:91], s[16:17], v[166:167]
	v_fma_f64 v[144:145], v[90:91], s[16:17], -v[166:167]
	v_add_f64_e32 v[128:129], v[100:101], v[96:97]
	v_add_f64_e32 v[96:97], v[221:222], v[22:23]
	s_delay_alu instid0(VALU_DEP_3) | instskip(SKIP_3) | instid1(VALU_DEP_2)
	v_add_f64_e32 v[106:107], v[144:145], v[106:107]
	s_wait_loadcnt 0x0
	v_add_f64_e64 v[100:101], v[24:25], -v[28:29]
	v_dual_mov_b32 v43, v29 :: v_dual_mov_b32 v42, v28
	v_mul_f64_e32 v[172:173], s[22:23], v[100:101]
	s_delay_alu instid0(VALU_DEP_1) | instskip(SKIP_1) | instid1(VALU_DEP_2)
	v_fma_f64 v[102:103], v[96:97], s[18:19], -v[172:173]
	v_fma_f64 v[144:145], v[96:97], s[18:19], v[172:173]
	v_add_f64_e32 v[130:131], v[102:103], v[98:99]
	v_add_f64_e64 v[102:103], v[221:222], -v[22:23]
	v_dual_mov_b32 v222, v25 :: v_dual_mov_b32 v221, v24
	v_add_f64_e32 v[98:99], v[24:25], v[28:29]
	s_clause 0x2
	scratch_load_b64 v[24:25], off, off offset:1280
	scratch_load_b64 v[28:29], off, off offset:1296
	;; [unrolled: 1-line block ×3, first 2 shown]
	v_add_f64_e32 v[104:105], v[144:145], v[104:105]
	v_mul_f64_e32 v[174:175], s[22:23], v[102:103]
	s_delay_alu instid0(VALU_DEP_1) | instskip(SKIP_1) | instid1(VALU_DEP_2)
	v_fma_f64 v[132:133], v[98:99], s[18:19], v[174:175]
	v_fma_f64 v[144:145], v[98:99], s[18:19], -v[174:175]
	v_add_f64_e32 v[136:137], v[132:133], v[128:129]
	s_delay_alu instid0(VALU_DEP_2)
	v_add_f64_e32 v[106:107], v[144:145], v[106:107]
	s_wait_loadcnt 0x2
	v_mov_b32_e32 v212, v25
	s_wait_loadcnt 0x1
	v_add_f64_e64 v[132:133], v[24:25], -v[28:29]
	s_wait_loadcnt 0x0
	v_add_f64_e32 v[128:129], v[22:23], v[20:21]
	v_dual_mov_b32 v216, v23 :: v_dual_mov_b32 v215, v22
	v_mov_b32_e32 v211, v24
	v_dual_mov_b32 v39, v29 :: v_dual_mov_b32 v38, v28
	v_mul_f64_e32 v[176:177], s[28:29], v[132:133]
	s_delay_alu instid0(VALU_DEP_1) | instskip(SKIP_1) | instid1(VALU_DEP_2)
	v_fma_f64 v[134:135], v[128:129], s[20:21], -v[176:177]
	v_fma_f64 v[144:145], v[128:129], s[20:21], v[176:177]
	v_add_f64_e32 v[138:139], v[134:135], v[130:131]
	v_add_f64_e64 v[134:135], v[22:23], -v[20:21]
	s_clause 0x1
	scratch_load_b64 v[22:23], off, off offset:1216
	scratch_load_b64 v[30:31], off, off offset:1248
	v_mov_b32_e32 v40, v20
	v_add_f64_e32 v[130:131], v[24:25], v[28:29]
	s_clause 0x2
	scratch_load_b64 v[20:21], off, off offset:1200
	scratch_load_b64 v[24:25], off, off offset:1232
	;; [unrolled: 1-line block ×3, first 2 shown]
	v_add_f64_e32 v[104:105], v[144:145], v[104:105]
	v_mul_f64_e32 v[178:179], s[28:29], v[134:135]
	s_delay_alu instid0(VALU_DEP_1) | instskip(SKIP_1) | instid1(VALU_DEP_2)
	v_fma_f64 v[140:141], v[130:131], s[20:21], v[178:179]
	v_fma_f64 v[144:145], v[130:131], s[20:21], -v[178:179]
	v_add_f64_e32 v[146:147], v[140:141], v[136:137]
	s_delay_alu instid0(VALU_DEP_2)
	v_add_f64_e32 v[106:107], v[144:145], v[106:107]
	s_wait_loadcnt 0x3
	v_dual_mov_b32 v220, v23 :: v_dual_mov_b32 v37, v31
	v_add_f64_e64 v[140:141], v[22:23], -v[30:31]
	v_mov_b32_e32 v36, v30
	s_wait_loadcnt 0x1
	v_add_f64_e32 v[136:137], v[20:21], v[24:25]
	v_dual_mov_b32 v29, v25 :: v_dual_mov_b32 v28, v24
	v_dual_mov_b32 v214, v21 :: v_dual_mov_b32 v213, v20
	v_mov_b32_e32 v219, v22
	v_mul_f64_e32 v[180:181], s[34:35], v[140:141]
	s_delay_alu instid0(VALU_DEP_1) | instskip(SKIP_1) | instid1(VALU_DEP_2)
	v_fma_f64 v[142:143], v[136:137], s[26:27], -v[180:181]
	v_fma_f64 v[144:145], v[136:137], s[26:27], v[180:181]
	v_add_f64_e32 v[148:149], v[142:143], v[138:139]
	v_add_f64_e64 v[142:143], v[20:21], -v[24:25]
	v_add_f64_e32 v[138:139], v[22:23], v[30:31]
	s_clause 0x1
	scratch_load_b64 v[24:25], off, off offset:1168
	scratch_load_b64 v[30:31], off, off offset:1184
	v_add_f64_e32 v[104:105], v[144:145], v[104:105]
	v_mul_f64_e32 v[182:183], s[34:35], v[142:143]
	s_delay_alu instid0(VALU_DEP_1) | instskip(SKIP_1) | instid1(VALU_DEP_2)
	v_fma_f64 v[150:151], v[138:139], s[26:27], v[182:183]
	v_fma_f64 v[144:145], v[138:139], s[26:27], -v[182:183]
	v_add_f64_e32 v[192:193], v[150:151], v[146:147]
	s_wait_loadcnt 0x2
	v_add_f64_e64 v[150:151], v[196:197], -v[26:27]
	s_delay_alu instid0(VALU_DEP_3) | instskip(NEXT) | instid1(VALU_DEP_2)
	v_add_f64_e32 v[106:107], v[144:145], v[106:107]
	v_mul_f64_e32 v[194:195], s[38:39], v[150:151]
	s_wait_loadcnt 0x1
	v_mov_b32_e32 v20, v24
	s_wait_loadcnt 0x0
	v_add_f64_e32 v[146:147], v[24:25], v[30:31]
	v_dual_mov_b32 v21, v25 :: v_dual_mov_b32 v22, v30
	v_mov_b32_e32 v23, v31
	s_delay_alu instid0(VALU_DEP_3) | instskip(SKIP_1) | instid1(VALU_DEP_2)
	v_fma_f64 v[152:153], v[146:147], s[30:31], -v[194:195]
	v_fma_f64 v[144:145], v[146:147], s[30:31], v[194:195]
	v_add_f64_e32 v[200:201], v[152:153], v[148:149]
	v_add_f64_e64 v[152:153], v[24:25], -v[30:31]
	v_dual_mov_b32 v24, v196 :: v_dual_mov_b32 v25, v197
	v_add_f64_e32 v[148:149], v[196:197], v[26:27]
	v_add_f64_e32 v[104:105], v[144:145], v[104:105]
	v_mul_f64_e32 v[144:145], s[36:37], v[76:77]
	v_dual_mov_b32 v31, v27 :: v_dual_mov_b32 v30, v26
	v_mul_f64_e32 v[196:197], s[38:39], v[152:153]
	s_delay_alu instid0(VALU_DEP_1) | instskip(SKIP_1) | instid1(VALU_DEP_2)
	v_fma_f64 v[198:199], v[148:149], s[30:31], v[196:197]
	v_fma_f64 v[154:155], v[148:149], s[30:31], -v[196:197]
	v_add_f64_e32 v[202:203], v[198:199], v[192:193]
	s_delay_alu instid0(VALU_DEP_2)
	v_add_f64_e32 v[106:107], v[154:155], v[106:107]
	v_fma_f64 v[154:155], v[68:69], s[16:17], -v[144:145]
	v_fma_f64 v[144:145], v[68:69], s[16:17], v[144:145]
	s_clause 0x1
	scratch_store_b128 off, v[200:203], off offset:64
	scratch_store_b128 off, v[104:107], off offset:96
	v_mul_f64_e32 v[104:105], s[40:41], v[18:19]
	s_delay_alu instid0(VALU_DEP_1) | instskip(SKIP_1) | instid1(VALU_DEP_2)
	v_fma_f64 v[106:107], v[16:17], s[12:13], -v[104:105]
	v_fma_f64 v[104:105], v[16:17], s[12:13], v[104:105]
	v_add_f64_e32 v[106:107], v[228:229], v[106:107]
	s_delay_alu instid0(VALU_DEP_2) | instskip(NEXT) | instid1(VALU_DEP_2)
	v_add_f64_e32 v[104:105], v[228:229], v[104:105]
	v_add_f64_e32 v[106:107], v[154:155], v[106:107]
	v_mul_f64_e32 v[154:155], s[40:41], v[74:75]
	s_delay_alu instid0(VALU_DEP_3) | instskip(NEXT) | instid1(VALU_DEP_2)
	v_add_f64_e32 v[104:105], v[144:145], v[104:105]
	v_fma_f64 v[156:157], v[70:71], s[12:13], v[154:155]
	v_fma_f64 v[144:145], v[70:71], s[12:13], -v[154:155]
	v_fma_f64 v[154:155], v[72:73], s[16:17], -v[158:159]
	v_mul_f64_e32 v[158:159], s[28:29], v[78:79]
	s_delay_alu instid0(VALU_DEP_4) | instskip(NEXT) | instid1(VALU_DEP_4)
	v_add_f64_e32 v[156:157], v[230:231], v[156:157]
	v_add_f64_e32 v[144:145], v[230:231], v[144:145]
	s_delay_alu instid0(VALU_DEP_2) | instskip(SKIP_1) | instid1(VALU_DEP_3)
	v_add_f64_e32 v[156:157], v[164:165], v[156:157]
	v_mul_f64_e32 v[164:165], s[28:29], v[84:85]
	v_add_f64_e32 v[144:145], v[154:155], v[144:145]
	s_delay_alu instid0(VALU_DEP_2) | instskip(SKIP_2) | instid1(VALU_DEP_3)
	v_fma_f64 v[166:167], v[80:81], s[20:21], -v[164:165]
	v_fma_f64 v[154:155], v[80:81], s[20:21], v[164:165]
	v_fma_f64 v[164:165], v[72:73], s[20:21], v[158:159]
	v_add_f64_e32 v[106:107], v[166:167], v[106:107]
	v_mul_f64_e32 v[166:167], s[28:29], v[86:87]
	s_delay_alu instid0(VALU_DEP_4) | instskip(NEXT) | instid1(VALU_DEP_2)
	v_add_f64_e32 v[104:105], v[154:155], v[104:105]
	v_fma_f64 v[172:173], v[82:83], s[20:21], v[166:167]
	v_fma_f64 v[154:155], v[82:83], s[20:21], -v[166:167]
	s_delay_alu instid0(VALU_DEP_2) | instskip(SKIP_1) | instid1(VALU_DEP_3)
	v_add_f64_e32 v[156:157], v[172:173], v[156:157]
	v_mul_f64_e32 v[172:173], s[38:39], v[92:93]
	v_add_f64_e32 v[144:145], v[154:155], v[144:145]
	s_delay_alu instid0(VALU_DEP_2) | instskip(SKIP_1) | instid1(VALU_DEP_2)
	v_fma_f64 v[174:175], v[88:89], s[30:31], -v[172:173]
	v_fma_f64 v[154:155], v[88:89], s[30:31], v[172:173]
	v_add_f64_e32 v[106:107], v[174:175], v[106:107]
	v_mul_f64_e32 v[174:175], s[38:39], v[94:95]
	s_delay_alu instid0(VALU_DEP_3) | instskip(NEXT) | instid1(VALU_DEP_2)
	v_add_f64_e32 v[104:105], v[154:155], v[104:105]
	v_fma_f64 v[176:177], v[90:91], s[30:31], v[174:175]
	v_fma_f64 v[154:155], v[90:91], s[30:31], -v[174:175]
	s_delay_alu instid0(VALU_DEP_2) | instskip(SKIP_1) | instid1(VALU_DEP_3)
	v_add_f64_e32 v[156:157], v[176:177], v[156:157]
	v_mul_f64_e32 v[176:177], s[54:55], v[100:101]
	v_add_f64_e32 v[144:145], v[154:155], v[144:145]
	s_delay_alu instid0(VALU_DEP_2) | instskip(SKIP_1) | instid1(VALU_DEP_2)
	v_fma_f64 v[178:179], v[96:97], s[26:27], -v[176:177]
	v_fma_f64 v[154:155], v[96:97], s[26:27], v[176:177]
	v_add_f64_e32 v[106:107], v[178:179], v[106:107]
	v_mul_f64_e32 v[178:179], s[54:55], v[102:103]
	s_delay_alu instid0(VALU_DEP_3) | instskip(NEXT) | instid1(VALU_DEP_2)
	;; [unrolled: 13-line block ×5, first 2 shown]
	v_add_f64_e32 v[104:105], v[154:155], v[104:105]
	v_fma_f64 v[198:199], v[148:149], s[2:3], v[106:107]
	v_fma_f64 v[106:107], v[148:149], s[2:3], -v[106:107]
	s_delay_alu instid0(VALU_DEP_2) | instskip(NEXT) | instid1(VALU_DEP_2)
	v_add_f64_e32 v[202:203], v[198:199], v[156:157]
	v_add_f64_e32 v[106:107], v[106:107], v[144:145]
	v_mul_f64_e32 v[144:145], s[28:29], v[76:77]
	s_clause 0x1
	scratch_store_b128 off, v[200:203], off offset:16
	scratch_store_b128 off, v[104:107], off offset:32
	v_mul_f64_e32 v[104:105], s[42:43], v[18:19]
	v_fma_f64 v[154:155], v[68:69], s[20:21], -v[144:145]
	v_fma_f64 v[144:145], v[68:69], s[20:21], v[144:145]
	s_delay_alu instid0(VALU_DEP_3) | instskip(SKIP_1) | instid1(VALU_DEP_2)
	v_fma_f64 v[106:107], v[16:17], s[14:15], -v[104:105]
	v_fma_f64 v[104:105], v[16:17], s[14:15], v[104:105]
	v_add_f64_e32 v[106:107], v[228:229], v[106:107]
	s_delay_alu instid0(VALU_DEP_2) | instskip(NEXT) | instid1(VALU_DEP_2)
	v_add_f64_e32 v[104:105], v[228:229], v[104:105]
	v_add_f64_e32 v[106:107], v[154:155], v[106:107]
	v_mul_f64_e32 v[154:155], s[42:43], v[74:75]
	s_delay_alu instid0(VALU_DEP_3) | instskip(NEXT) | instid1(VALU_DEP_2)
	v_add_f64_e32 v[104:105], v[144:145], v[104:105]
	v_fma_f64 v[156:157], v[70:71], s[14:15], v[154:155]
	v_fma_f64 v[144:145], v[70:71], s[14:15], -v[154:155]
	v_fma_f64 v[154:155], v[72:73], s[20:21], -v[158:159]
	v_mul_f64_e32 v[158:159], s[38:39], v[78:79]
	s_delay_alu instid0(VALU_DEP_4) | instskip(NEXT) | instid1(VALU_DEP_4)
	v_add_f64_e32 v[156:157], v[230:231], v[156:157]
	v_add_f64_e32 v[144:145], v[230:231], v[144:145]
	s_delay_alu instid0(VALU_DEP_2) | instskip(SKIP_1) | instid1(VALU_DEP_3)
	v_add_f64_e32 v[156:157], v[164:165], v[156:157]
	v_mul_f64_e32 v[164:165], s[58:59], v[84:85]
	v_add_f64_e32 v[144:145], v[154:155], v[144:145]
	s_delay_alu instid0(VALU_DEP_2) | instskip(SKIP_2) | instid1(VALU_DEP_3)
	v_fma_f64 v[166:167], v[80:81], s[30:31], -v[164:165]
	v_fma_f64 v[154:155], v[80:81], s[30:31], v[164:165]
	v_fma_f64 v[164:165], v[72:73], s[30:31], v[158:159]
	v_add_f64_e32 v[106:107], v[166:167], v[106:107]
	v_mul_f64_e32 v[166:167], s[58:59], v[86:87]
	s_delay_alu instid0(VALU_DEP_4) | instskip(NEXT) | instid1(VALU_DEP_2)
	v_add_f64_e32 v[104:105], v[154:155], v[104:105]
	v_fma_f64 v[172:173], v[82:83], s[30:31], v[166:167]
	v_fma_f64 v[154:155], v[82:83], s[30:31], -v[166:167]
	s_delay_alu instid0(VALU_DEP_2) | instskip(SKIP_1) | instid1(VALU_DEP_3)
	v_add_f64_e32 v[156:157], v[172:173], v[156:157]
	v_mul_f64_e32 v[172:173], s[50:51], v[92:93]
	v_add_f64_e32 v[144:145], v[154:155], v[144:145]
	s_delay_alu instid0(VALU_DEP_2) | instskip(SKIP_1) | instid1(VALU_DEP_2)
	v_fma_f64 v[174:175], v[88:89], s[18:19], -v[172:173]
	v_fma_f64 v[154:155], v[88:89], s[18:19], v[172:173]
	v_add_f64_e32 v[106:107], v[174:175], v[106:107]
	v_mul_f64_e32 v[174:175], s[50:51], v[94:95]
	s_delay_alu instid0(VALU_DEP_3) | instskip(NEXT) | instid1(VALU_DEP_2)
	v_add_f64_e32 v[104:105], v[154:155], v[104:105]
	v_fma_f64 v[176:177], v[90:91], s[18:19], v[174:175]
	v_fma_f64 v[154:155], v[90:91], s[18:19], -v[174:175]
	s_delay_alu instid0(VALU_DEP_2) | instskip(SKIP_1) | instid1(VALU_DEP_3)
	v_add_f64_e32 v[156:157], v[176:177], v[156:157]
	v_mul_f64_e32 v[176:177], s[48:49], v[100:101]
	v_add_f64_e32 v[144:145], v[154:155], v[144:145]
	s_delay_alu instid0(VALU_DEP_2) | instskip(SKIP_1) | instid1(VALU_DEP_2)
	v_fma_f64 v[178:179], v[96:97], s[12:13], -v[176:177]
	v_fma_f64 v[154:155], v[96:97], s[12:13], v[176:177]
	v_add_f64_e32 v[106:107], v[178:179], v[106:107]
	v_mul_f64_e32 v[178:179], s[48:49], v[102:103]
	s_delay_alu instid0(VALU_DEP_3) | instskip(NEXT) | instid1(VALU_DEP_2)
	;; [unrolled: 13-line block ×5, first 2 shown]
	v_add_f64_e32 v[104:105], v[154:155], v[104:105]
	v_fma_f64 v[198:199], v[148:149], s[26:27], v[106:107]
	v_fma_f64 v[106:107], v[148:149], s[26:27], -v[106:107]
	s_delay_alu instid0(VALU_DEP_2) | instskip(NEXT) | instid1(VALU_DEP_2)
	v_add_f64_e32 v[202:203], v[198:199], v[156:157]
	v_add_f64_e32 v[106:107], v[106:107], v[144:145]
	v_mul_f64_e32 v[144:145], s[38:39], v[76:77]
	s_clause 0x1
	scratch_store_b128 off, v[200:203], off offset:80
	scratch_store_b128 off, v[104:107], off offset:48
	v_mul_f64_e32 v[104:105], s[36:37], v[18:19]
	v_fma_f64 v[154:155], v[68:69], s[30:31], -v[144:145]
	v_fma_f64 v[144:145], v[68:69], s[30:31], v[144:145]
	s_delay_alu instid0(VALU_DEP_3) | instskip(SKIP_1) | instid1(VALU_DEP_2)
	v_fma_f64 v[106:107], v[16:17], s[16:17], -v[104:105]
	v_fma_f64 v[104:105], v[16:17], s[16:17], v[104:105]
	v_add_f64_e32 v[106:107], v[228:229], v[106:107]
	s_delay_alu instid0(VALU_DEP_2) | instskip(NEXT) | instid1(VALU_DEP_2)
	v_add_f64_e32 v[104:105], v[228:229], v[104:105]
	v_add_f64_e32 v[106:107], v[154:155], v[106:107]
	v_mul_f64_e32 v[154:155], s[36:37], v[74:75]
	s_delay_alu instid0(VALU_DEP_3) | instskip(NEXT) | instid1(VALU_DEP_2)
	v_add_f64_e32 v[104:105], v[144:145], v[104:105]
	v_fma_f64 v[156:157], v[70:71], s[16:17], v[154:155]
	v_fma_f64 v[144:145], v[70:71], s[16:17], -v[154:155]
	v_fma_f64 v[154:155], v[72:73], s[30:31], -v[158:159]
	v_mul_f64_e32 v[158:159], s[54:55], v[78:79]
	s_delay_alu instid0(VALU_DEP_4) | instskip(NEXT) | instid1(VALU_DEP_4)
	v_add_f64_e32 v[156:157], v[230:231], v[156:157]
	v_add_f64_e32 v[144:145], v[230:231], v[144:145]
	s_delay_alu instid0(VALU_DEP_2) | instskip(SKIP_1) | instid1(VALU_DEP_3)
	v_add_f64_e32 v[156:157], v[164:165], v[156:157]
	v_mul_f64_e32 v[164:165], s[50:51], v[84:85]
	v_add_f64_e32 v[144:145], v[154:155], v[144:145]
	s_delay_alu instid0(VALU_DEP_2) | instskip(SKIP_2) | instid1(VALU_DEP_3)
	v_fma_f64 v[166:167], v[80:81], s[18:19], -v[164:165]
	v_fma_f64 v[154:155], v[80:81], s[18:19], v[164:165]
	v_fma_f64 v[164:165], v[72:73], s[26:27], v[158:159]
	v_add_f64_e32 v[106:107], v[166:167], v[106:107]
	v_mul_f64_e32 v[166:167], s[50:51], v[86:87]
	s_delay_alu instid0(VALU_DEP_4) | instskip(NEXT) | instid1(VALU_DEP_2)
	v_add_f64_e32 v[104:105], v[154:155], v[104:105]
	v_fma_f64 v[172:173], v[82:83], s[18:19], v[166:167]
	v_fma_f64 v[154:155], v[82:83], s[18:19], -v[166:167]
	s_delay_alu instid0(VALU_DEP_2) | instskip(SKIP_1) | instid1(VALU_DEP_3)
	v_add_f64_e32 v[156:157], v[172:173], v[156:157]
	v_mul_f64_e32 v[172:173], s[46:47], v[92:93]
	v_add_f64_e32 v[144:145], v[154:155], v[144:145]
	s_delay_alu instid0(VALU_DEP_2) | instskip(SKIP_1) | instid1(VALU_DEP_2)
	v_fma_f64 v[174:175], v[88:89], s[2:3], -v[172:173]
	v_fma_f64 v[154:155], v[88:89], s[2:3], v[172:173]
	v_add_f64_e32 v[106:107], v[174:175], v[106:107]
	v_mul_f64_e32 v[174:175], s[46:47], v[94:95]
	s_delay_alu instid0(VALU_DEP_3) | instskip(NEXT) | instid1(VALU_DEP_2)
	v_add_f64_e32 v[104:105], v[154:155], v[104:105]
	v_fma_f64 v[176:177], v[90:91], s[2:3], v[174:175]
	v_fma_f64 v[154:155], v[90:91], s[2:3], -v[174:175]
	s_delay_alu instid0(VALU_DEP_2) | instskip(SKIP_1) | instid1(VALU_DEP_3)
	v_add_f64_e32 v[156:157], v[176:177], v[156:157]
	v_mul_f64_e32 v[176:177], s[42:43], v[100:101]
	v_add_f64_e32 v[144:145], v[154:155], v[144:145]
	s_delay_alu instid0(VALU_DEP_2) | instskip(SKIP_1) | instid1(VALU_DEP_2)
	v_fma_f64 v[178:179], v[96:97], s[14:15], -v[176:177]
	v_fma_f64 v[154:155], v[96:97], s[14:15], v[176:177]
	v_add_f64_e32 v[106:107], v[178:179], v[106:107]
	v_mul_f64_e32 v[178:179], s[42:43], v[102:103]
	s_delay_alu instid0(VALU_DEP_3) | instskip(NEXT) | instid1(VALU_DEP_2)
	v_add_f64_e32 v[104:105], v[154:155], v[104:105]
	v_fma_f64 v[180:181], v[98:99], s[14:15], v[178:179]
	v_fma_f64 v[154:155], v[98:99], s[14:15], -v[178:179]
	s_delay_alu instid0(VALU_DEP_2) | instskip(SKIP_1) | instid1(VALU_DEP_3)
	v_add_f64_e32 v[156:157], v[180:181], v[156:157]
	v_mul_f64_e32 v[180:181], s[34:35], v[132:133]
	v_add_f64_e32 v[144:145], v[154:155], v[144:145]
	s_delay_alu instid0(VALU_DEP_2) | instskip(SKIP_1) | instid1(VALU_DEP_2)
	v_fma_f64 v[182:183], v[128:129], s[26:27], -v[180:181]
	v_fma_f64 v[154:155], v[128:129], s[26:27], v[180:181]
	v_add_f64_e32 v[106:107], v[182:183], v[106:107]
	v_mul_f64_e32 v[182:183], s[34:35], v[134:135]
	s_delay_alu instid0(VALU_DEP_3) | instskip(NEXT) | instid1(VALU_DEP_2)
	v_add_f64_e32 v[104:105], v[154:155], v[104:105]
	v_fma_f64 v[192:193], v[130:131], s[26:27], v[182:183]
	v_fma_f64 v[154:155], v[130:131], s[26:27], -v[182:183]
	s_delay_alu instid0(VALU_DEP_2) | instskip(SKIP_1) | instid1(VALU_DEP_3)
	v_add_f64_e32 v[156:157], v[192:193], v[156:157]
	v_mul_f64_e32 v[192:193], s[56:57], v[140:141]
	v_add_f64_e32 v[144:145], v[154:155], v[144:145]
	s_delay_alu instid0(VALU_DEP_2) | instskip(SKIP_1) | instid1(VALU_DEP_2)
	v_fma_f64 v[194:195], v[136:137], s[20:21], -v[192:193]
	v_fma_f64 v[154:155], v[136:137], s[20:21], v[192:193]
	v_add_f64_e32 v[106:107], v[194:195], v[106:107]
	v_mul_f64_e32 v[194:195], s[56:57], v[142:143]
	s_delay_alu instid0(VALU_DEP_3) | instskip(NEXT) | instid1(VALU_DEP_2)
	v_add_f64_e32 v[104:105], v[154:155], v[104:105]
	v_fma_f64 v[196:197], v[138:139], s[20:21], v[194:195]
	v_fma_f64 v[154:155], v[138:139], s[20:21], -v[194:195]
	s_delay_alu instid0(VALU_DEP_2) | instskip(SKIP_1) | instid1(VALU_DEP_3)
	v_add_f64_e32 v[156:157], v[196:197], v[156:157]
	v_mul_f64_e32 v[196:197], s[48:49], v[150:151]
	v_add_f64_e32 v[144:145], v[154:155], v[144:145]
	s_delay_alu instid0(VALU_DEP_2) | instskip(SKIP_1) | instid1(VALU_DEP_2)
	v_fma_f64 v[198:199], v[146:147], s[12:13], -v[196:197]
	v_fma_f64 v[154:155], v[146:147], s[12:13], v[196:197]
	v_add_f64_e32 v[200:201], v[198:199], v[106:107]
	v_mul_f64_e32 v[106:107], s[48:49], v[152:153]
	s_delay_alu instid0(VALU_DEP_3) | instskip(NEXT) | instid1(VALU_DEP_2)
	v_add_f64_e32 v[104:105], v[154:155], v[104:105]
	v_fma_f64 v[198:199], v[148:149], s[12:13], v[106:107]
	v_fma_f64 v[106:107], v[148:149], s[12:13], -v[106:107]
	s_delay_alu instid0(VALU_DEP_2) | instskip(NEXT) | instid1(VALU_DEP_2)
	v_add_f64_e32 v[202:203], v[198:199], v[156:157]
	v_add_f64_e32 v[106:107], v[106:107], v[144:145]
	v_mul_f64_e32 v[144:145], s[54:55], v[76:77]
	s_clause 0x1
	scratch_store_b128 off, v[200:203], off offset:112
	scratch_store_b128 off, v[104:107], off offset:144
	v_mul_f64_e32 v[104:105], s[22:23], v[18:19]
	v_fma_f64 v[154:155], v[68:69], s[26:27], -v[144:145]
	v_fma_f64 v[144:145], v[68:69], s[26:27], v[144:145]
	s_delay_alu instid0(VALU_DEP_3) | instskip(SKIP_1) | instid1(VALU_DEP_2)
	v_fma_f64 v[106:107], v[16:17], s[18:19], -v[104:105]
	v_fma_f64 v[104:105], v[16:17], s[18:19], v[104:105]
	v_add_f64_e32 v[106:107], v[228:229], v[106:107]
	s_delay_alu instid0(VALU_DEP_2) | instskip(NEXT) | instid1(VALU_DEP_2)
	v_add_f64_e32 v[104:105], v[228:229], v[104:105]
	v_add_f64_e32 v[106:107], v[154:155], v[106:107]
	v_mul_f64_e32 v[154:155], s[22:23], v[74:75]
	s_delay_alu instid0(VALU_DEP_3) | instskip(NEXT) | instid1(VALU_DEP_2)
	v_add_f64_e32 v[104:105], v[144:145], v[104:105]
	v_fma_f64 v[156:157], v[70:71], s[18:19], v[154:155]
	v_fma_f64 v[144:145], v[70:71], s[18:19], -v[154:155]
	v_fma_f64 v[154:155], v[72:73], s[26:27], -v[158:159]
	v_mul_f64_e32 v[158:159], s[50:51], v[78:79]
	s_delay_alu instid0(VALU_DEP_4) | instskip(NEXT) | instid1(VALU_DEP_4)
	v_add_f64_e32 v[156:157], v[230:231], v[156:157]
	v_add_f64_e32 v[144:145], v[230:231], v[144:145]
	s_delay_alu instid0(VALU_DEP_2) | instskip(SKIP_1) | instid1(VALU_DEP_3)
	v_add_f64_e32 v[156:157], v[164:165], v[156:157]
	v_mul_f64_e32 v[164:165], s[48:49], v[84:85]
	v_add_f64_e32 v[144:145], v[154:155], v[144:145]
	s_delay_alu instid0(VALU_DEP_2) | instskip(SKIP_2) | instid1(VALU_DEP_3)
	v_fma_f64 v[166:167], v[80:81], s[12:13], -v[164:165]
	v_fma_f64 v[154:155], v[80:81], s[12:13], v[164:165]
	v_fma_f64 v[164:165], v[72:73], s[18:19], v[158:159]
	v_add_f64_e32 v[106:107], v[166:167], v[106:107]
	v_mul_f64_e32 v[166:167], s[48:49], v[86:87]
	s_delay_alu instid0(VALU_DEP_4) | instskip(NEXT) | instid1(VALU_DEP_2)
	v_add_f64_e32 v[104:105], v[154:155], v[104:105]
	v_fma_f64 v[172:173], v[82:83], s[12:13], v[166:167]
	v_fma_f64 v[154:155], v[82:83], s[12:13], -v[166:167]
	s_delay_alu instid0(VALU_DEP_2) | instskip(SKIP_1) | instid1(VALU_DEP_3)
	v_add_f64_e32 v[156:157], v[172:173], v[156:157]
	v_mul_f64_e32 v[172:173], s[42:43], v[92:93]
	v_add_f64_e32 v[144:145], v[154:155], v[144:145]
	s_delay_alu instid0(VALU_DEP_2) | instskip(SKIP_1) | instid1(VALU_DEP_2)
	v_fma_f64 v[174:175], v[88:89], s[14:15], -v[172:173]
	v_fma_f64 v[154:155], v[88:89], s[14:15], v[172:173]
	v_add_f64_e32 v[106:107], v[174:175], v[106:107]
	v_mul_f64_e32 v[174:175], s[42:43], v[94:95]
	s_delay_alu instid0(VALU_DEP_3) | instskip(NEXT) | instid1(VALU_DEP_2)
	v_add_f64_e32 v[104:105], v[154:155], v[104:105]
	v_fma_f64 v[176:177], v[90:91], s[14:15], v[174:175]
	v_fma_f64 v[154:155], v[90:91], s[14:15], -v[174:175]
	s_delay_alu instid0(VALU_DEP_2) | instskip(SKIP_1) | instid1(VALU_DEP_3)
	v_add_f64_e32 v[156:157], v[176:177], v[156:157]
	v_mul_f64_e32 v[176:177], s[38:39], v[100:101]
	v_add_f64_e32 v[144:145], v[154:155], v[144:145]
	s_delay_alu instid0(VALU_DEP_2) | instskip(SKIP_1) | instid1(VALU_DEP_2)
	v_fma_f64 v[178:179], v[96:97], s[30:31], -v[176:177]
	v_fma_f64 v[154:155], v[96:97], s[30:31], v[176:177]
	v_add_f64_e32 v[106:107], v[178:179], v[106:107]
	v_mul_f64_e32 v[178:179], s[38:39], v[102:103]
	s_delay_alu instid0(VALU_DEP_3) | instskip(NEXT) | instid1(VALU_DEP_2)
	;; [unrolled: 13-line block ×5, first 2 shown]
	v_add_f64_e32 v[104:105], v[154:155], v[104:105]
	v_fma_f64 v[198:199], v[148:149], s[20:21], v[106:107]
	v_fma_f64 v[106:107], v[148:149], s[20:21], -v[106:107]
	s_delay_alu instid0(VALU_DEP_2) | instskip(NEXT) | instid1(VALU_DEP_2)
	v_add_f64_e32 v[202:203], v[198:199], v[156:157]
	v_add_f64_e32 v[106:107], v[106:107], v[144:145]
	v_mul_f64_e32 v[144:145], s[50:51], v[76:77]
	s_clause 0x1
	scratch_store_b128 off, v[200:203], off offset:128
	scratch_store_b128 off, v[104:107], off offset:160
	v_mul_f64_e32 v[104:105], s[28:29], v[18:19]
	v_fma_f64 v[154:155], v[68:69], s[18:19], -v[144:145]
	v_fma_f64 v[144:145], v[68:69], s[18:19], v[144:145]
	s_delay_alu instid0(VALU_DEP_3) | instskip(SKIP_1) | instid1(VALU_DEP_2)
	v_fma_f64 v[106:107], v[16:17], s[20:21], -v[104:105]
	v_fma_f64 v[104:105], v[16:17], s[20:21], v[104:105]
	v_add_f64_e32 v[106:107], v[228:229], v[106:107]
	s_delay_alu instid0(VALU_DEP_2) | instskip(NEXT) | instid1(VALU_DEP_2)
	v_add_f64_e32 v[104:105], v[228:229], v[104:105]
	v_add_f64_e32 v[106:107], v[154:155], v[106:107]
	v_mul_f64_e32 v[154:155], s[28:29], v[74:75]
	s_delay_alu instid0(VALU_DEP_3) | instskip(NEXT) | instid1(VALU_DEP_2)
	v_add_f64_e32 v[104:105], v[144:145], v[104:105]
	v_fma_f64 v[156:157], v[70:71], s[20:21], v[154:155]
	v_fma_f64 v[144:145], v[70:71], s[20:21], -v[154:155]
	v_fma_f64 v[154:155], v[72:73], s[18:19], -v[158:159]
	v_mul_f64_e32 v[158:159], s[44:45], v[78:79]
	v_mul_f64_e32 v[78:79], s[46:47], v[78:79]
	v_add_f64_e32 v[156:157], v[230:231], v[156:157]
	v_add_f64_e32 v[144:145], v[230:231], v[144:145]
	s_delay_alu instid0(VALU_DEP_2) | instskip(SKIP_1) | instid1(VALU_DEP_3)
	v_add_f64_e32 v[156:157], v[164:165], v[156:157]
	v_mul_f64_e32 v[164:165], s[24:25], v[84:85]
	v_add_f64_e32 v[144:145], v[154:155], v[144:145]
	s_delay_alu instid0(VALU_DEP_2) | instskip(SKIP_2) | instid1(VALU_DEP_3)
	v_fma_f64 v[166:167], v[80:81], s[2:3], -v[164:165]
	v_fma_f64 v[154:155], v[80:81], s[2:3], v[164:165]
	v_fma_f64 v[164:165], v[72:73], s[14:15], v[158:159]
	v_add_f64_e32 v[106:107], v[166:167], v[106:107]
	v_mul_f64_e32 v[166:167], s[24:25], v[86:87]
	s_delay_alu instid0(VALU_DEP_4) | instskip(NEXT) | instid1(VALU_DEP_2)
	v_add_f64_e32 v[104:105], v[154:155], v[104:105]
	v_fma_f64 v[172:173], v[82:83], s[2:3], v[166:167]
	v_fma_f64 v[154:155], v[82:83], s[2:3], -v[166:167]
	s_delay_alu instid0(VALU_DEP_2) | instskip(SKIP_1) | instid1(VALU_DEP_3)
	v_add_f64_e32 v[156:157], v[172:173], v[156:157]
	v_mul_f64_e32 v[172:173], s[34:35], v[92:93]
	v_add_f64_e32 v[144:145], v[154:155], v[144:145]
	s_delay_alu instid0(VALU_DEP_2) | instskip(SKIP_1) | instid1(VALU_DEP_2)
	v_fma_f64 v[174:175], v[88:89], s[26:27], -v[172:173]
	v_fma_f64 v[154:155], v[88:89], s[26:27], v[172:173]
	v_add_f64_e32 v[106:107], v[174:175], v[106:107]
	v_mul_f64_e32 v[174:175], s[34:35], v[94:95]
	s_delay_alu instid0(VALU_DEP_3) | instskip(NEXT) | instid1(VALU_DEP_2)
	v_add_f64_e32 v[104:105], v[154:155], v[104:105]
	v_fma_f64 v[176:177], v[90:91], s[26:27], v[174:175]
	v_fma_f64 v[154:155], v[90:91], s[26:27], -v[174:175]
	s_delay_alu instid0(VALU_DEP_2) | instskip(SKIP_1) | instid1(VALU_DEP_3)
	v_add_f64_e32 v[156:157], v[176:177], v[156:157]
	v_mul_f64_e32 v[176:177], s[52:53], v[100:101]
	v_add_f64_e32 v[144:145], v[154:155], v[144:145]
	s_delay_alu instid0(VALU_DEP_2) | instskip(SKIP_1) | instid1(VALU_DEP_2)
	v_fma_f64 v[178:179], v[96:97], s[16:17], -v[176:177]
	v_fma_f64 v[154:155], v[96:97], s[16:17], v[176:177]
	v_add_f64_e32 v[106:107], v[178:179], v[106:107]
	v_mul_f64_e32 v[178:179], s[52:53], v[102:103]
	s_delay_alu instid0(VALU_DEP_3) | instskip(NEXT) | instid1(VALU_DEP_2)
	;; [unrolled: 13-line block ×5, first 2 shown]
	v_add_f64_e32 v[104:105], v[154:155], v[104:105]
	v_fma_f64 v[198:199], v[148:149], s[14:15], v[106:107]
	v_fma_f64 v[106:107], v[148:149], s[14:15], -v[106:107]
	s_delay_alu instid0(VALU_DEP_2) | instskip(NEXT) | instid1(VALU_DEP_2)
	v_add_f64_e32 v[202:203], v[198:199], v[156:157]
	v_add_f64_e32 v[106:107], v[106:107], v[144:145]
	v_mul_f64_e32 v[144:145], s[44:45], v[76:77]
	v_mul_f64_e32 v[76:77], s[46:47], v[76:77]
	s_clause 0x1
	scratch_store_b128 off, v[200:203], off offset:176
	scratch_store_b128 off, v[104:107], off offset:192
	v_mul_f64_e32 v[104:105], s[34:35], v[18:19]
	v_fma_f64 v[154:155], v[68:69], s[14:15], -v[144:145]
	v_fma_f64 v[144:145], v[68:69], s[14:15], v[144:145]
	v_mul_f64_e32 v[18:19], s[38:39], v[18:19]
	s_delay_alu instid0(VALU_DEP_4) | instskip(SKIP_1) | instid1(VALU_DEP_2)
	v_fma_f64 v[106:107], v[16:17], s[26:27], -v[104:105]
	v_fma_f64 v[104:105], v[16:17], s[26:27], v[104:105]
	v_add_f64_e32 v[106:107], v[228:229], v[106:107]
	s_delay_alu instid0(VALU_DEP_2) | instskip(NEXT) | instid1(VALU_DEP_2)
	v_add_f64_e32 v[104:105], v[228:229], v[104:105]
	v_add_f64_e32 v[106:107], v[154:155], v[106:107]
	v_mul_f64_e32 v[154:155], s[34:35], v[74:75]
	s_delay_alu instid0(VALU_DEP_3) | instskip(SKIP_1) | instid1(VALU_DEP_3)
	v_add_f64_e32 v[104:105], v[144:145], v[104:105]
	v_mul_f64_e32 v[74:75], s[38:39], v[74:75]
	v_fma_f64 v[156:157], v[70:71], s[26:27], v[154:155]
	v_fma_f64 v[144:145], v[70:71], s[26:27], -v[154:155]
	v_fma_f64 v[154:155], v[72:73], s[14:15], -v[158:159]
	s_delay_alu instid0(VALU_DEP_3) | instskip(NEXT) | instid1(VALU_DEP_3)
	v_add_f64_e32 v[156:157], v[230:231], v[156:157]
	v_add_f64_e32 v[144:145], v[230:231], v[144:145]
	s_delay_alu instid0(VALU_DEP_2) | instskip(SKIP_1) | instid1(VALU_DEP_3)
	v_add_f64_e32 v[156:157], v[164:165], v[156:157]
	v_mul_f64_e32 v[164:165], s[36:37], v[84:85]
	v_add_f64_e32 v[144:145], v[154:155], v[144:145]
	v_mul_f64_e32 v[84:85], s[34:35], v[84:85]
	s_delay_alu instid0(VALU_DEP_3) | instskip(SKIP_1) | instid1(VALU_DEP_2)
	v_fma_f64 v[166:167], v[80:81], s[16:17], -v[164:165]
	v_fma_f64 v[154:155], v[80:81], s[16:17], v[164:165]
	v_add_f64_e32 v[106:107], v[166:167], v[106:107]
	v_mul_f64_e32 v[166:167], s[36:37], v[86:87]
	s_delay_alu instid0(VALU_DEP_3) | instskip(SKIP_1) | instid1(VALU_DEP_3)
	v_add_f64_e32 v[104:105], v[154:155], v[104:105]
	v_mul_f64_e32 v[86:87], s[34:35], v[86:87]
	v_fma_f64 v[172:173], v[82:83], s[16:17], v[166:167]
	v_fma_f64 v[154:155], v[82:83], s[16:17], -v[166:167]
	s_delay_alu instid0(VALU_DEP_2) | instskip(SKIP_1) | instid1(VALU_DEP_3)
	v_add_f64_e32 v[156:157], v[172:173], v[156:157]
	v_mul_f64_e32 v[172:173], s[56:57], v[92:93]
	v_add_f64_e32 v[144:145], v[154:155], v[144:145]
	v_mul_f64_e32 v[92:93], s[48:49], v[92:93]
	s_delay_alu instid0(VALU_DEP_3) | instskip(SKIP_1) | instid1(VALU_DEP_2)
	v_fma_f64 v[174:175], v[88:89], s[20:21], -v[172:173]
	v_fma_f64 v[154:155], v[88:89], s[20:21], v[172:173]
	v_add_f64_e32 v[106:107], v[174:175], v[106:107]
	v_mul_f64_e32 v[174:175], s[56:57], v[94:95]
	s_delay_alu instid0(VALU_DEP_3) | instskip(SKIP_1) | instid1(VALU_DEP_3)
	v_add_f64_e32 v[104:105], v[154:155], v[104:105]
	v_mul_f64_e32 v[94:95], s[48:49], v[94:95]
	v_fma_f64 v[176:177], v[90:91], s[20:21], v[174:175]
	v_fma_f64 v[154:155], v[90:91], s[20:21], -v[174:175]
	;; [unrolled: 15-line block ×5, first 2 shown]
	s_delay_alu instid0(VALU_DEP_2) | instskip(SKIP_1) | instid1(VALU_DEP_3)
	v_add_f64_e32 v[156:157], v[196:197], v[156:157]
	v_mul_f64_e32 v[196:197], s[22:23], v[150:151]
	v_add_f64_e32 v[144:145], v[154:155], v[144:145]
	s_delay_alu instid0(VALU_DEP_2) | instskip(SKIP_1) | instid1(VALU_DEP_2)
	v_fma_f64 v[198:199], v[146:147], s[18:19], -v[196:197]
	v_fma_f64 v[154:155], v[146:147], s[18:19], v[196:197]
	v_add_f64_e32 v[200:201], v[198:199], v[106:107]
	v_mul_f64_e32 v[106:107], s[22:23], v[152:153]
	s_delay_alu instid0(VALU_DEP_3) | instskip(NEXT) | instid1(VALU_DEP_2)
	v_add_f64_e32 v[104:105], v[154:155], v[104:105]
	v_fma_f64 v[198:199], v[148:149], s[18:19], v[106:107]
	v_fma_f64 v[106:107], v[148:149], s[18:19], -v[106:107]
	s_delay_alu instid0(VALU_DEP_2) | instskip(NEXT) | instid1(VALU_DEP_2)
	v_add_f64_e32 v[202:203], v[198:199], v[156:157]
	v_add_f64_e32 v[106:107], v[106:107], v[144:145]
	v_fma_f64 v[144:145], v[72:73], s[2:3], v[78:79]
	s_clause 0x1
	scratch_store_b128 off, v[200:203], off offset:208
	scratch_store_b128 off, v[104:107], off offset:224
	v_fma_f64 v[104:105], v[16:17], s[30:31], -v[18:19]
	v_fma_f64 v[106:107], v[68:69], s[2:3], -v[76:77]
	v_fma_f64 v[16:17], v[16:17], s[30:31], v[18:19]
	v_fma_f64 v[18:19], v[70:71], s[30:31], -v[74:75]
	v_fma_f64 v[68:69], v[68:69], s[2:3], v[76:77]
	v_add_f64_e32 v[104:105], v[228:229], v[104:105]
	s_delay_alu instid0(VALU_DEP_4) | instskip(NEXT) | instid1(VALU_DEP_4)
	v_add_f64_e32 v[16:17], v[228:229], v[16:17]
	v_add_f64_e32 v[18:19], v[230:231], v[18:19]
	s_delay_alu instid0(VALU_DEP_3) | instskip(SKIP_1) | instid1(VALU_DEP_4)
	v_add_f64_e32 v[104:105], v[106:107], v[104:105]
	v_fma_f64 v[106:107], v[70:71], s[30:31], v[74:75]
	v_add_f64_e32 v[16:17], v[68:69], v[16:17]
	v_fma_f64 v[68:69], v[72:73], s[2:3], -v[78:79]
	v_fma_f64 v[70:71], v[82:83], s[26:27], -v[86:87]
	s_delay_alu instid0(VALU_DEP_4) | instskip(NEXT) | instid1(VALU_DEP_3)
	v_add_f64_e32 v[106:107], v[230:231], v[106:107]
	v_add_f64_e32 v[18:19], v[68:69], v[18:19]
	v_fma_f64 v[68:69], v[80:81], s[26:27], v[84:85]
	s_delay_alu instid0(VALU_DEP_3) | instskip(SKIP_1) | instid1(VALU_DEP_4)
	v_add_f64_e32 v[106:107], v[144:145], v[106:107]
	v_fma_f64 v[144:145], v[80:81], s[26:27], -v[84:85]
	v_add_f64_e32 v[18:19], v[70:71], v[18:19]
	s_delay_alu instid0(VALU_DEP_4) | instskip(SKIP_4) | instid1(VALU_DEP_4)
	v_add_f64_e32 v[16:17], v[68:69], v[16:17]
	v_fma_f64 v[68:69], v[88:89], s[12:13], v[92:93]
	v_fma_f64 v[70:71], v[90:91], s[12:13], -v[94:95]
	v_add_f64_e32 v[104:105], v[144:145], v[104:105]
	v_fma_f64 v[144:145], v[82:83], s[26:27], v[86:87]
	v_add_f64_e32 v[16:17], v[68:69], v[16:17]
	s_delay_alu instid0(VALU_DEP_4) | instskip(SKIP_4) | instid1(VALU_DEP_4)
	v_add_f64_e32 v[18:19], v[70:71], v[18:19]
	v_fma_f64 v[68:69], v[96:97], s[20:21], v[100:101]
	v_fma_f64 v[70:71], v[98:99], s[20:21], -v[102:103]
	v_add_f64_e32 v[106:107], v[144:145], v[106:107]
	v_fma_f64 v[144:145], v[88:89], s[12:13], -v[92:93]
	v_add_f64_e32 v[16:17], v[68:69], v[16:17]
	s_delay_alu instid0(VALU_DEP_4) | instskip(SKIP_4) | instid1(VALU_DEP_4)
	v_add_f64_e32 v[18:19], v[70:71], v[18:19]
	v_fma_f64 v[68:69], v[128:129], s[14:15], v[132:133]
	v_fma_f64 v[70:71], v[130:131], s[14:15], -v[134:135]
	v_add_f64_e32 v[104:105], v[144:145], v[104:105]
	v_fma_f64 v[144:145], v[90:91], s[12:13], v[94:95]
	v_add_f64_e32 v[16:17], v[68:69], v[16:17]
	s_delay_alu instid0(VALU_DEP_4) | instskip(SKIP_4) | instid1(VALU_DEP_4)
	v_add_f64_e32 v[18:19], v[70:71], v[18:19]
	v_fma_f64 v[68:69], v[136:137], s[18:19], v[140:141]
	v_fma_f64 v[70:71], v[138:139], s[18:19], -v[142:143]
	v_add_f64_e32 v[106:107], v[144:145], v[106:107]
	v_fma_f64 v[144:145], v[96:97], s[20:21], -v[100:101]
	v_add_f64_e32 v[16:17], v[68:69], v[16:17]
	s_delay_alu instid0(VALU_DEP_4) | instskip(NEXT) | instid1(VALU_DEP_3)
	v_add_f64_e32 v[18:19], v[70:71], v[18:19]
	v_add_f64_e32 v[104:105], v[144:145], v[104:105]
	v_fma_f64 v[144:145], v[98:99], s[20:21], v[102:103]
	s_delay_alu instid0(VALU_DEP_1) | instskip(SKIP_1) | instid1(VALU_DEP_1)
	v_add_f64_e32 v[106:107], v[144:145], v[106:107]
	v_fma_f64 v[144:145], v[128:129], s[14:15], -v[132:133]
	v_add_f64_e32 v[104:105], v[144:145], v[104:105]
	v_fma_f64 v[144:145], v[130:131], s[14:15], v[134:135]
	s_delay_alu instid0(VALU_DEP_1) | instskip(SKIP_1) | instid1(VALU_DEP_1)
	v_add_f64_e32 v[106:107], v[144:145], v[106:107]
	v_fma_f64 v[144:145], v[136:137], s[18:19], -v[140:141]
	v_add_f64_e32 v[104:105], v[144:145], v[104:105]
	v_fma_f64 v[144:145], v[138:139], s[18:19], v[142:143]
	s_delay_alu instid0(VALU_DEP_1) | instskip(SKIP_2) | instid1(VALU_DEP_2)
	v_add_f64_e32 v[106:107], v[144:145], v[106:107]
	v_mul_f64_e32 v[144:145], s[52:53], v[150:151]
	v_mul_f64_e32 v[150:151], s[52:53], v[152:153]
	v_fma_f64 v[152:153], v[146:147], s[16:17], -v[144:145]
	v_fma_f64 v[68:69], v[146:147], s[16:17], v[144:145]
	s_delay_alu instid0(VALU_DEP_3) | instskip(NEXT) | instid1(VALU_DEP_3)
	v_fma_f64 v[70:71], v[148:149], s[16:17], -v[150:151]
	v_add_f64_e32 v[152:153], v[152:153], v[104:105]
	v_fma_f64 v[104:105], v[148:149], s[16:17], v[150:151]
	s_delay_alu instid0(VALU_DEP_4) | instskip(NEXT) | instid1(VALU_DEP_4)
	v_add_f64_e32 v[16:17], v[68:69], v[16:17]
	v_add_f64_e32 v[18:19], v[70:71], v[18:19]
	s_delay_alu instid0(VALU_DEP_3)
	v_add_f64_e32 v[154:155], v[104:105], v[106:107]
	scratch_store_b128 off, v[16:19], off offset:256 ; 16-byte Folded Spill
	s_clause 0x1
	scratch_load_b32 v16, off, off offset:1052 th:TH_LOAD_LU
	scratch_load_b32 v17, off, off offset:1088 th:TH_LOAD_LU
	scratch_store_b128 off, v[152:155], off offset:240 ; 16-byte Folded Spill
	global_wb scope:SCOPE_SE
	s_wait_loadcnt 0x0
	s_wait_storecnt 0x0
	s_barrier_signal -1
	s_barrier_wait -1
	global_inv scope:SCOPE_SE
	v_and_b32_e32 v16, 0xffff, v16
	s_delay_alu instid0(VALU_DEP_1) | instskip(NEXT) | instid1(VALU_DEP_1)
	v_mul_u32_u24_e32 v16, 0x77, v16
	v_add_nc_u32_e32 v16, v16, v17
	s_delay_alu instid0(VALU_DEP_1)
	v_lshl_add_u32 v16, v16, 4, v208
	ds_store_b128 v16, v[0:3]
	scratch_load_b128 v[0:3], off, off offset:1304 th:TH_LOAD_LU ; 16-byte Folded Reload
	s_wait_loadcnt 0x0
	ds_store_b128 v16, v[0:3] offset:112
	scratch_load_b128 v[0:3], off, off offset:1920 th:TH_LOAD_LU ; 16-byte Folded Reload
	s_wait_loadcnt 0x0
	ds_store_b128 v16, v[0:3] offset:224
	;; [unrolled: 3-line block ×4, first 2 shown]
	ds_store_b128 v16, v[44:47] offset:560
	ds_store_b128 v16, v[52:55] offset:672
	;; [unrolled: 1-line block ×8, first 2 shown]
	scratch_load_b128 v[0:3], off, off offset:1968 th:TH_LOAD_LU ; 16-byte Folded Reload
	scratch_store_b32 off, v16, off offset:1304 ; 4-byte Folded Spill
	s_wait_loadcnt 0x0
	ds_store_b128 v16, v[0:3] offset:1456
	scratch_load_b128 v[0:3], off, off offset:1936 th:TH_LOAD_LU ; 16-byte Folded Reload
	s_wait_loadcnt 0x0
	ds_store_b128 v16, v[0:3] offset:1568
	scratch_load_b128 v[0:3], off, off offset:1904 th:TH_LOAD_LU ; 16-byte Folded Reload
	;; [unrolled: 3-line block ×3, first 2 shown]
	s_wait_loadcnt 0x0
	ds_store_b128 v16, v[0:3] offset:1792
	s_clause 0x1
	scratch_load_b32 v0, off, off offset:1120 th:TH_LOAD_LU
	scratch_load_b32 v1, off, off offset:1136 th:TH_LOAD_LU
	s_wait_loadcnt 0x1
	v_and_b32_e32 v0, 0xffff, v0
	s_delay_alu instid0(VALU_DEP_1) | instskip(SKIP_1) | instid1(VALU_DEP_1)
	v_mul_u32_u24_e32 v0, 0x77, v0
	s_wait_loadcnt 0x0
	v_add_nc_u32_e32 v0, v0, v1
	s_delay_alu instid0(VALU_DEP_1)
	v_lshl_add_u32 v255, v0, 4, v208
	ds_store_b128 v255, v[112:115]
	ds_store_b128 v255, v[184:187] offset:112
	ds_store_b128 v255, v[168:171] offset:224
	;; [unrolled: 1-line block ×16, first 2 shown]
	scratch_load_b32 v0, off, off offset:1152 th:TH_LOAD_LU ; 4-byte Folded Reload
	s_wait_loadcnt 0x0
	v_and_b32_e32 v0, 0xff, v0
	scratch_store_b32 off, v0, off offset:1052 ; 4-byte Folded Spill
	s_and_saveexec_b32 s2, vcc_lo
	s_cbranch_execz .LBB0_5
; %bb.4:
	s_clause 0x1
	scratch_load_b64 v[0:1], off, off offset:8 th:TH_LOAD_LU
	scratch_load_b64 v[4:5], off, off offset:272 th:TH_LOAD_LU
	v_add_f64_e32 v[2:3], v[228:229], v[204:205]
	s_delay_alu instid0(VALU_DEP_1) | instskip(SKIP_2) | instid1(VALU_DEP_1)
	v_add_f64_e32 v[2:3], v[2:3], v[206:207]
	s_wait_loadcnt 0x1
	v_add_f64_e32 v[0:1], v[230:231], v[0:1]
	v_add_f64_e32 v[0:1], v[0:1], v[209:210]
	s_wait_loadcnt 0x0
	s_delay_alu instid0(VALU_DEP_1)
	v_add_f64_e32 v[0:1], v[0:1], v[4:5]
	scratch_load_b64 v[4:5], off, off offset:288 th:TH_LOAD_LU ; 8-byte Folded Reload
	s_wait_loadcnt 0x0
	v_add_f64_e32 v[2:3], v[2:3], v[4:5]
	scratch_load_b64 v[4:5], off, off offset:320 th:TH_LOAD_LU ; 8-byte Folded Reload
	s_wait_loadcnt 0x0
	v_add_f64_e32 v[0:1], v[0:1], v[4:5]
	scratch_load_b64 v[4:5], off, off offset:304 th:TH_LOAD_LU ; 8-byte Folded Reload
	v_add_f64_e32 v[0:1], v[0:1], v[221:222]
	s_delay_alu instid0(VALU_DEP_1) | instskip(NEXT) | instid1(VALU_DEP_1)
	v_add_f64_e32 v[0:1], v[0:1], v[211:212]
	v_add_f64_e32 v[0:1], v[0:1], v[219:220]
	s_delay_alu instid0(VALU_DEP_1) | instskip(NEXT) | instid1(VALU_DEP_1)
	v_add_f64_e32 v[0:1], v[0:1], v[24:25]
	;; [unrolled: 3-line block ×3, first 2 shown]
	v_add_f64_e32 v[0:1], v[0:1], v[38:39]
	s_delay_alu instid0(VALU_DEP_1) | instskip(SKIP_4) | instid1(VALU_DEP_1)
	v_add_f64_e32 v[0:1], v[0:1], v[42:43]
	s_wait_loadcnt 0x0
	v_add_f64_e32 v[2:3], v[2:3], v[4:5]
	scratch_load_b64 v[4:5], off, off offset:336 th:TH_LOAD_LU ; 8-byte Folded Reload
	v_add_f64_e32 v[2:3], v[2:3], v[217:218]
	v_add_f64_e32 v[2:3], v[2:3], v[215:216]
	s_delay_alu instid0(VALU_DEP_1) | instskip(NEXT) | instid1(VALU_DEP_1)
	v_add_f64_e32 v[2:3], v[2:3], v[213:214]
	v_add_f64_e32 v[2:3], v[2:3], v[20:21]
	s_delay_alu instid0(VALU_DEP_1) | instskip(NEXT) | instid1(VALU_DEP_1)
	v_add_f64_e32 v[2:3], v[2:3], v[22:23]
	v_add_f64_e32 v[2:3], v[2:3], v[28:29]
	s_delay_alu instid0(VALU_DEP_1) | instskip(SKIP_1) | instid1(VALU_DEP_1)
	v_add_f64_e32 v[2:3], v[2:3], v[40:41]
	s_wait_loadcnt 0x0
	v_add_f64_e32 v[2:3], v[2:3], v[4:5]
	scratch_load_b64 v[4:5], off, off offset:368 th:TH_LOAD_LU ; 8-byte Folded Reload
	s_wait_loadcnt 0x0
	v_add_f64_e32 v[0:1], v[0:1], v[4:5]
	scratch_load_b64 v[4:5], off, off offset:352 th:TH_LOAD_LU ; 8-byte Folded Reload
	;; [unrolled: 3-line block ×8, first 2 shown]
	s_wait_loadcnt 0x0
	v_add_f64_e32 v[0:1], v[4:5], v[0:1]
	s_clause 0x1
	scratch_load_b32 v4, off, off offset:1052
	scratch_load_b128 v[5:8], off, off offset:16
	s_wait_loadcnt 0x1
	v_lshl_add_u32 v4, v4, 4, v208
	s_wait_loadcnt 0x0
	ds_store_b128 v4, v[5:8] offset:7840
	scratch_load_b128 v[5:8], off, off offset:80 ; 16-byte Folded Reload
	s_wait_loadcnt 0x0
	ds_store_b128 v4, v[5:8] offset:7952
	scratch_load_b128 v[5:8], off, off offset:112 ; 16-byte Folded Reload
	;; [unrolled: 3-line block ×14, first 2 shown]
	s_wait_loadcnt 0x0
	ds_store_b128 v4, v[5:8] offset:7728
	ds_store_b128 v4, v[0:3] offset:7616
	scratch_load_b128 v[0:3], off, off offset:96 ; 16-byte Folded Reload
	s_wait_loadcnt 0x0
	ds_store_b128 v4, v[0:3] offset:9408
.LBB0_5:
	s_wait_alu 0xfffe
	s_or_b32 exec_lo, exec_lo, s2
	scratch_load_b32 v162, off, off         ; 4-byte Folded Reload
	global_wb scope:SCOPE_SE
	s_wait_storecnt 0x0
	s_wait_loadcnt_dscnt 0x0
	s_barrier_signal -1
	s_barrier_wait -1
	global_inv scope:SCOPE_SE
	s_mov_b32 s14, 0x134454ff
	s_mov_b32 s15, 0x3fee6f0e
	;; [unrolled: 1-line block ×3, first 2 shown]
	s_wait_alu 0xfffe
	s_mov_b32 s12, s14
	s_mov_b32 s2, 0x4755a5e
	;; [unrolled: 1-line block ×11, first 2 shown]
	v_lshlrev_b32_e32 v0, 6, v162
	v_lshlrev_b32_e32 v204, 4, v162
	s_clause 0x2
	global_load_b128 v[57:60], v0, s[10:11] offset:1792
	global_load_b128 v[49:52], v0, s[10:11] offset:1808
	;; [unrolled: 1-line block ×3, first 2 shown]
	scratch_load_b32 v1, off, off offset:1072 th:TH_LOAD_LU ; 4-byte Folded Reload
	s_wait_loadcnt 0x0
	v_lshlrev_b32_e32 v1, 6, v1
	s_clause 0x4
	global_load_b128 v[61:64], v0, s[10:11] offset:1840
	global_load_b128 v[73:76], v1, s[10:11] offset:1792
	;; [unrolled: 1-line block ×5, first 2 shown]
	v_lshlrev_b32_e32 v1, 6, v253
	s_clause 0x3
	global_load_b128 v[85:88], v1, s[10:11] offset:1792
	global_load_b128 v[81:84], v1, s[10:11] offset:1808
	;; [unrolled: 1-line block ×4, first 2 shown]
	ds_load_b128 v[1:4], v252 offset:1904
	ds_load_b128 v[5:8], v252 offset:3808
	;; [unrolled: 1-line block ×6, first 2 shown]
	s_clause 0x2
	scratch_store_b128 off, v[49:52], off offset:288
	scratch_store_b128 off, v[53:56], off offset:272
	scratch_store_b128 off, v[57:60], off offset:304
	ds_load_b128 v[21:24], v252 offset:4080
	s_wait_dscnt 0x6
	v_mul_f64_e32 v[29:30], v[3:4], v[59:60]
	v_mul_f64_e32 v[31:32], v[1:2], v[59:60]
	s_wait_dscnt 0x5
	v_mul_f64_e32 v[33:34], v[7:8], v[51:52]
	v_mul_f64_e32 v[35:36], v[5:6], v[51:52]
	;; [unrolled: 3-line block ×3, first 2 shown]
	v_fma_f64 v[29:30], v[1:2], v[57:58], -v[29:30]
	v_fma_f64 v[31:32], v[3:4], v[57:58], v[31:32]
	ds_load_b128 v[1:4], v252 offset:7888
	v_fma_f64 v[33:34], v[5:6], v[49:50], -v[33:34]
	v_fma_f64 v[35:36], v[7:8], v[49:50], v[35:36]
	ds_load_b128 v[5:8], v252 offset:2448
	;; [unrolled: 3-line block ×3, first 2 shown]
	s_wait_loadcnt_dscnt 0x806
	v_mul_f64_e32 v[41:42], v[15:16], v[63:64]
	v_mul_f64_e32 v[43:44], v[13:14], v[63:64]
	s_wait_loadcnt_dscnt 0x705
	v_mul_f64_e32 v[45:46], v[19:20], v[75:76]
	v_mul_f64_e32 v[47:48], v[17:18], v[75:76]
	;; [unrolled: 3-line block ×3, first 2 shown]
	s_clause 0x1
	scratch_store_b128 off, v[61:64], off offset:320
	scratch_store_b128 off, v[73:76], off offset:368
	s_wait_loadcnt 0x4
	scratch_store_b128 off, v[77:80], off offset:384 ; 16-byte Folded Spill
	s_wait_loadcnt 0x1
	scratch_store_b128 off, v[93:96], off offset:448 ; 16-byte Folded Spill
	s_wait_loadcnt 0x0
	s_clause 0x4
	scratch_store_b128 off, v[89:92], off offset:432
	scratch_store_b128 off, v[69:72], off offset:352
	;; [unrolled: 1-line block ×5, first 2 shown]
	v_fma_f64 v[128:129], v[13:14], v[61:62], -v[41:42]
	v_fma_f64 v[130:131], v[15:16], v[61:62], v[43:44]
	s_wait_dscnt 0x2
	v_mul_f64_e32 v[13:14], v[3:4], v[79:80]
	v_mul_f64_e32 v[15:16], v[1:2], v[79:80]
	v_fma_f64 v[44:45], v[17:18], v[73:74], -v[45:46]
	v_fma_f64 v[46:47], v[19:20], v[73:74], v[47:48]
	s_wait_dscnt 0x1
	v_mul_f64_e32 v[17:18], v[7:8], v[87:88]
	v_mul_f64_e32 v[19:20], v[5:6], v[87:88]
	v_fma_f64 v[132:133], v[25:26], v[65:66], -v[39:40]
	v_fma_f64 v[134:135], v[27:28], v[65:66], v[55:56]
	v_add_f64_e64 v[26:27], v[33:34], -v[37:38]
	v_fma_f64 v[136:137], v[1:2], v[77:78], -v[13:14]
	v_fma_f64 v[138:139], v[3:4], v[77:78], v[15:16]
	ds_load_b128 v[1:4], v252 offset:6256
	s_wait_dscnt 0x1
	v_mul_f64_e32 v[13:14], v[11:12], v[83:84]
	v_fma_f64 v[42:43], v[5:6], v[85:86], -v[17:18]
	v_fma_f64 v[40:41], v[7:8], v[85:86], v[19:20]
	v_mul_f64_e32 v[15:16], v[9:10], v[83:84]
	s_wait_dscnt 0x0
	v_mul_f64_e32 v[5:6], v[3:4], v[95:96]
	v_mul_f64_e32 v[7:8], v[1:2], v[95:96]
	v_fma_f64 v[62:63], v[9:10], v[81:82], -v[13:14]
	s_delay_alu instid0(VALU_DEP_4) | instskip(NEXT) | instid1(VALU_DEP_4)
	v_fma_f64 v[58:59], v[11:12], v[81:82], v[15:16]
	v_fma_f64 v[60:61], v[1:2], v[93:94], -v[5:6]
	s_delay_alu instid0(VALU_DEP_4) | instskip(SKIP_4) | instid1(VALU_DEP_2)
	v_fma_f64 v[56:57], v[3:4], v[93:94], v[7:8]
	ds_load_b128 v[1:4], v252 offset:8160
	s_wait_dscnt 0x0
	v_mul_f64_e32 v[5:6], v[3:4], v[91:92]
	v_add_f64_e64 v[142:143], v[62:63], -v[60:61]
	v_fma_f64 v[104:105], v[1:2], v[89:90], -v[5:6]
	v_mul_f64_e32 v[1:2], v[1:2], v[91:92]
	s_delay_alu instid0(VALU_DEP_1)
	v_fma_f64 v[106:107], v[3:4], v[89:90], v[1:2]
	scratch_load_b32 v1, off, off offset:1056 th:TH_LOAD_LU ; 4-byte Folded Reload
	s_wait_loadcnt 0x0
	v_lshlrev_b32_e32 v7, 6, v1
	ds_load_b128 v[1:4], v252 offset:2720
	v_mul_f64_e32 v[49:50], v[23:24], v[71:72]
	v_mul_f64_e32 v[51:52], v[21:22], v[71:72]
	global_load_b128 v[8:11], v7, s[10:11] offset:1792
	v_fma_f64 v[48:49], v[21:22], v[69:70], -v[49:50]
	v_fma_f64 v[50:51], v[23:24], v[69:70], v[51:52]
	v_add_f64_e64 v[20:21], v[31:32], -v[130:131]
	v_add_f64_e64 v[22:23], v[35:36], -v[53:54]
	;; [unrolled: 1-line block ×4, first 2 shown]
	s_wait_loadcnt_dscnt 0x0
	v_mul_f64_e32 v[5:6], v[3:4], v[10:11]
	scratch_store_b128 off, v[8:11], off offset:464 ; 16-byte Folded Spill
	v_fma_f64 v[114:115], v[1:2], v[8:9], -v[5:6]
	v_mul_f64_e32 v[1:2], v[1:2], v[10:11]
	s_delay_alu instid0(VALU_DEP_1)
	v_fma_f64 v[112:113], v[3:4], v[8:9], v[1:2]
	global_load_b128 v[8:11], v7, s[10:11] offset:1808
	ds_load_b128 v[1:4], v252 offset:4624
	s_wait_loadcnt_dscnt 0x0
	v_mul_f64_e32 v[5:6], v[3:4], v[10:11]
	scratch_store_b128 off, v[8:11], off offset:1056 ; 16-byte Folded Spill
	v_fma_f64 v[120:121], v[1:2], v[8:9], -v[5:6]
	v_mul_f64_e32 v[1:2], v[1:2], v[10:11]
	s_delay_alu instid0(VALU_DEP_1)
	v_fma_f64 v[116:117], v[3:4], v[8:9], v[1:2]
	global_load_b128 v[8:11], v7, s[10:11] offset:1824
	ds_load_b128 v[1:4], v252 offset:6528
	s_wait_loadcnt_dscnt 0x0
	v_mul_f64_e32 v[5:6], v[3:4], v[10:11]
	scratch_store_b128 off, v[8:11], off offset:1072 ; 16-byte Folded Spill
	v_fma_f64 v[122:123], v[1:2], v[8:9], -v[5:6]
	v_mul_f64_e32 v[1:2], v[1:2], v[10:11]
	s_delay_alu instid0(VALU_DEP_2) | instskip(NEXT) | instid1(VALU_DEP_2)
	v_add_f64_e64 v[146:147], v[120:121], -v[122:123]
	v_fma_f64 v[118:119], v[3:4], v[8:9], v[1:2]
	global_load_b128 v[7:10], v7, s[10:11] offset:1840
	ds_load_b128 v[1:4], v252 offset:8432
	s_wait_loadcnt_dscnt 0x0
	v_mul_f64_e32 v[5:6], v[3:4], v[9:10]
	scratch_store_b128 off, v[7:10], off offset:1088 ; 16-byte Folded Spill
	v_fma_f64 v[124:125], v[1:2], v[7:8], -v[5:6]
	v_mul_f64_e32 v[1:2], v[1:2], v[9:10]
	s_delay_alu instid0(VALU_DEP_2) | instskip(NEXT) | instid1(VALU_DEP_2)
	v_add_f64_e64 v[144:145], v[114:115], -v[124:125]
	v_fma_f64 v[126:127], v[3:4], v[7:8], v[1:2]
	scratch_load_b32 v1, off, off offset:1104 th:TH_LOAD_LU ; 4-byte Folded Reload
	s_wait_loadcnt 0x0
	v_lshlrev_b32_e32 v7, 6, v1
	ds_load_b128 v[1:4], v252 offset:2992
	global_load_b128 v[8:11], v7, s[10:11] offset:1792
	s_wait_loadcnt_dscnt 0x0
	v_mul_f64_e32 v[5:6], v[3:4], v[10:11]
	scratch_store_b128 off, v[8:11], off offset:1104 ; 16-byte Folded Spill
	v_fma_f64 v[94:95], v[1:2], v[8:9], -v[5:6]
	v_mul_f64_e32 v[1:2], v[1:2], v[10:11]
	s_delay_alu instid0(VALU_DEP_1)
	v_fma_f64 v[92:93], v[3:4], v[8:9], v[1:2]
	global_load_b128 v[8:11], v7, s[10:11] offset:1808
	ds_load_b128 v[1:4], v252 offset:4896
	s_wait_loadcnt_dscnt 0x0
	v_mul_f64_e32 v[5:6], v[3:4], v[10:11]
	scratch_store_b128 off, v[8:11], off offset:1120 ; 16-byte Folded Spill
	v_fma_f64 v[98:99], v[1:2], v[8:9], -v[5:6]
	v_mul_f64_e32 v[1:2], v[1:2], v[10:11]
	s_delay_alu instid0(VALU_DEP_2) | instskip(NEXT) | instid1(VALU_DEP_2)
	v_add_f64_e64 v[152:153], v[98:99], -v[94:95]
	v_fma_f64 v[96:97], v[3:4], v[8:9], v[1:2]
	global_load_b128 v[8:11], v7, s[10:11] offset:1824
	ds_load_b128 v[1:4], v252 offset:6800
	s_wait_loadcnt_dscnt 0x0
	v_mul_f64_e32 v[5:6], v[3:4], v[10:11]
	scratch_store_b128 off, v[8:11], off offset:1136 ; 16-byte Folded Spill
	v_fma_f64 v[102:103], v[1:2], v[8:9], -v[5:6]
	v_mul_f64_e32 v[1:2], v[1:2], v[10:11]
	s_delay_alu instid0(VALU_DEP_2) | instskip(NEXT) | instid1(VALU_DEP_2)
	v_add_f64_e64 v[150:151], v[98:99], -v[102:103]
	;; [unrolled: 10-line block ×3, first 2 shown]
	v_fma_f64 v[110:111], v[3:4], v[7:8], v[1:2]
	v_add_nc_u32_e32 v7, 0x1540, v0
	ds_load_b128 v[1:4], v252 offset:3264
	global_load_b128 v[8:11], v7, s[10:11] offset:1792
	s_wait_loadcnt_dscnt 0x0
	v_mul_f64_e32 v[5:6], v[3:4], v[10:11]
	scratch_store_b128 off, v[8:11], off offset:1168 ; 16-byte Folded Spill
	v_fma_f64 v[74:75], v[1:2], v[8:9], -v[5:6]
	v_mul_f64_e32 v[1:2], v[1:2], v[10:11]
	s_delay_alu instid0(VALU_DEP_1)
	v_fma_f64 v[72:73], v[3:4], v[8:9], v[1:2]
	global_load_b128 v[8:11], v7, s[10:11] offset:1808
	ds_load_b128 v[1:4], v252 offset:5168
	s_wait_loadcnt_dscnt 0x0
	v_mul_f64_e32 v[5:6], v[3:4], v[10:11]
	scratch_store_b128 off, v[8:11], off offset:1184 ; 16-byte Folded Spill
	v_fma_f64 v[80:81], v[1:2], v[8:9], -v[5:6]
	v_mul_f64_e32 v[1:2], v[1:2], v[10:11]
	s_delay_alu instid0(VALU_DEP_2) | instskip(NEXT) | instid1(VALU_DEP_2)
	v_add_f64_e64 v[156:157], v[80:81], -v[74:75]
	v_fma_f64 v[78:79], v[3:4], v[8:9], v[1:2]
	global_load_b128 v[8:11], v7, s[10:11] offset:1824
	ds_load_b128 v[1:4], v252 offset:7072
	s_wait_loadcnt_dscnt 0x0
	v_mul_f64_e32 v[5:6], v[3:4], v[10:11]
	scratch_store_b128 off, v[8:11], off offset:1200 ; 16-byte Folded Spill
	v_fma_f64 v[86:87], v[1:2], v[8:9], -v[5:6]
	v_mul_f64_e32 v[1:2], v[1:2], v[10:11]
	s_delay_alu instid0(VALU_DEP_2) | instskip(NEXT) | instid1(VALU_DEP_2)
	v_add_f64_e64 v[154:155], v[80:81], -v[86:87]
	v_fma_f64 v[84:85], v[3:4], v[8:9], v[1:2]
	global_load_b128 v[7:10], v7, s[10:11] offset:1840
	ds_load_b128 v[1:4], v252 offset:8976
	s_wait_loadcnt_dscnt 0x0
	v_mul_f64_e32 v[5:6], v[3:4], v[9:10]
	scratch_store_b128 off, v[7:10], off offset:1216 ; 16-byte Folded Spill
	v_fma_f64 v[88:89], v[1:2], v[7:8], -v[5:6]
	v_mul_f64_e32 v[1:2], v[1:2], v[9:10]
	v_add_nc_u32_e32 v6, 0x1980, v0
	s_delay_alu instid0(VALU_DEP_2)
	v_fma_f64 v[90:91], v[3:4], v[7:8], v[1:2]
	global_load_b128 v[7:10], v6, s[10:11] offset:1792
	ds_load_b128 v[0:3], v252 offset:3536
	s_wait_loadcnt_dscnt 0x0
	v_mul_f64_e32 v[4:5], v[2:3], v[9:10]
	scratch_store_b128 off, v[7:10], off offset:1232 ; 16-byte Folded Spill
	v_fma_f64 v[64:65], v[0:1], v[7:8], -v[4:5]
	v_mul_f64_e32 v[0:1], v[0:1], v[9:10]
	s_delay_alu instid0(VALU_DEP_1)
	v_fma_f64 v[12:13], v[2:3], v[7:8], v[0:1]
	global_load_b128 v[7:10], v6, s[10:11] offset:1808
	ds_load_b128 v[0:3], v252 offset:5440
	s_wait_loadcnt_dscnt 0x0
	v_mul_f64_e32 v[4:5], v[2:3], v[9:10]
	scratch_store_b128 off, v[7:10], off offset:1248 ; 16-byte Folded Spill
	v_fma_f64 v[68:69], v[0:1], v[7:8], -v[4:5]
	v_mul_f64_e32 v[0:1], v[0:1], v[9:10]
	s_delay_alu instid0(VALU_DEP_1)
	v_fma_f64 v[14:15], v[2:3], v[7:8], v[0:1]
	global_load_b128 v[7:10], v6, s[10:11] offset:1824
	ds_load_b128 v[0:3], v252 offset:7344
	s_wait_loadcnt_dscnt 0x0
	v_mul_f64_e32 v[4:5], v[2:3], v[9:10]
	scratch_store_b128 off, v[7:10], off offset:1264 ; 16-byte Folded Spill
	v_fma_f64 v[70:71], v[0:1], v[7:8], -v[4:5]
	v_mul_f64_e32 v[0:1], v[0:1], v[9:10]
	s_delay_alu instid0(VALU_DEP_2) | instskip(NEXT) | instid1(VALU_DEP_2)
	v_add_f64_e64 v[158:159], v[68:69], -v[70:71]
	v_fma_f64 v[66:67], v[2:3], v[7:8], v[0:1]
	global_load_b128 v[6:9], v6, s[10:11] offset:1840
	ds_load_b128 v[0:3], v252 offset:9248
	s_mov_b32 s11, 0xbfe2cf23
	s_wait_alu 0xfffe
	s_mov_b32 s10, s2
	s_wait_loadcnt_dscnt 0x0
	v_mul_f64_e32 v[4:5], v[2:3], v[8:9]
	scratch_store_b128 off, v[6:9], off offset:1280 ; 16-byte Folded Spill
	v_fma_f64 v[82:83], v[0:1], v[6:7], -v[4:5]
	v_mul_f64_e32 v[0:1], v[0:1], v[8:9]
	v_add_f64_e64 v[4:5], v[130:131], -v[53:54]
	ds_load_b128 v[8:11], v252
	v_fma_f64 v[76:77], v[2:3], v[6:7], v[0:1]
	v_add_f64_e64 v[0:1], v[29:30], -v[33:34]
	v_add_f64_e64 v[2:3], v[128:129], -v[37:38]
	s_delay_alu instid0(VALU_DEP_1) | instskip(SKIP_1) | instid1(VALU_DEP_1)
	v_add_f64_e32 v[0:1], v[0:1], v[2:3]
	v_add_f64_e64 v[2:3], v[31:32], -v[35:36]
	v_add_f64_e32 v[2:3], v[2:3], v[4:5]
	v_add_f64_e32 v[4:5], v[33:34], v[37:38]
	s_wait_dscnt 0x0
	s_delay_alu instid0(VALU_DEP_1) | instskip(SKIP_1) | instid1(VALU_DEP_1)
	v_fma_f64 v[16:17], v[4:5], -0.5, v[8:9]
	v_add_f64_e32 v[4:5], v[35:36], v[53:54]
	v_fma_f64 v[18:19], v[4:5], -0.5, v[10:11]
	s_delay_alu instid0(VALU_DEP_3) | instskip(SKIP_1) | instid1(VALU_DEP_3)
	v_fma_f64 v[4:5], v[20:21], s[14:15], v[16:17]
	v_fma_f64 v[16:17], v[20:21], s[12:13], v[16:17]
	v_fma_f64 v[6:7], v[24:25], s[12:13], v[18:19]
	s_delay_alu instid0(VALU_DEP_3) | instskip(SKIP_1) | instid1(VALU_DEP_4)
	v_fma_f64 v[4:5], v[22:23], s[2:3], v[4:5]
	v_fma_f64 v[18:19], v[24:25], s[14:15], v[18:19]
	;; [unrolled: 1-line block ×3, first 2 shown]
	s_delay_alu instid0(VALU_DEP_4) | instskip(NEXT) | instid1(VALU_DEP_4)
	v_fma_f64 v[6:7], v[26:27], s[10:11], v[6:7]
	v_fma_f64 v[4:5], v[0:1], s[16:17], v[4:5]
	s_delay_alu instid0(VALU_DEP_4) | instskip(NEXT) | instid1(VALU_DEP_4)
	v_fma_f64 v[18:19], v[26:27], s[2:3], v[18:19]
	v_fma_f64 v[0:1], v[0:1], s[16:17], v[16:17]
	v_add_f64_e32 v[16:17], v[29:30], v[128:129]
	v_fma_f64 v[6:7], v[2:3], s[16:17], v[6:7]
	s_delay_alu instid0(VALU_DEP_4) | instskip(SKIP_1) | instid1(VALU_DEP_4)
	v_fma_f64 v[2:3], v[2:3], s[16:17], v[18:19]
	v_add_f64_e32 v[18:19], v[31:32], v[130:131]
	v_fma_f64 v[16:17], v[16:17], -0.5, v[8:9]
	v_add_f64_e32 v[8:9], v[8:9], v[29:30]
	v_add_f64_e64 v[28:29], v[33:34], -v[29:30]
	s_delay_alu instid0(VALU_DEP_4) | instskip(SKIP_1) | instid1(VALU_DEP_4)
	v_fma_f64 v[18:19], v[18:19], -0.5, v[10:11]
	v_add_f64_e32 v[10:11], v[10:11], v[31:32]
	v_add_f64_e32 v[8:9], v[8:9], v[33:34]
	v_add_f64_e64 v[30:31], v[35:36], -v[31:32]
	v_add_f64_e64 v[32:33], v[37:38], -v[128:129]
	s_delay_alu instid0(VALU_DEP_4) | instskip(NEXT) | instid1(VALU_DEP_4)
	v_add_f64_e32 v[10:11], v[10:11], v[35:36]
	v_add_f64_e32 v[8:9], v[8:9], v[37:38]
	v_add_f64_e64 v[34:35], v[53:54], -v[130:131]
	v_fma_f64 v[36:37], v[22:23], s[12:13], v[16:17]
	v_fma_f64 v[16:17], v[22:23], s[14:15], v[16:17]
	;; [unrolled: 1-line block ×4, first 2 shown]
	v_add_f64_e32 v[26:27], v[28:29], v[32:33]
	v_add_f64_e32 v[32:33], v[48:49], v[132:133]
	;; [unrolled: 1-line block ×5, first 2 shown]
	v_fma_f64 v[30:31], v[20:21], s[2:3], v[36:37]
	v_fma_f64 v[16:17], v[20:21], s[10:11], v[16:17]
	;; [unrolled: 1-line block ×4, first 2 shown]
	v_add_f64_e32 v[34:35], v[50:51], v[134:135]
	v_add_f64_e64 v[52:53], v[46:47], -v[138:139]
	v_add_f64_e64 v[128:129], v[44:45], -v[136:137]
	;; [unrolled: 1-line block ×3, first 2 shown]
	v_add_f64_e32 v[10:11], v[10:11], v[130:131]
	v_add_f64_e64 v[130:131], v[48:49], -v[132:133]
	v_fma_f64 v[20:21], v[26:27], s[16:17], v[30:31]
	v_fma_f64 v[24:25], v[26:27], s[16:17], v[16:17]
	v_add_f64_e64 v[16:17], v[44:45], -v[48:49]
	v_fma_f64 v[26:27], v[28:29], s[16:17], v[18:19]
	v_add_f64_e64 v[18:19], v[136:137], -v[132:133]
	v_fma_f64 v[22:23], v[28:29], s[16:17], v[22:23]
	s_delay_alu instid0(VALU_DEP_2) | instskip(SKIP_2) | instid1(VALU_DEP_1)
	v_add_f64_e32 v[28:29], v[16:17], v[18:19]
	v_add_f64_e64 v[16:17], v[46:47], -v[50:51]
	v_add_f64_e64 v[18:19], v[138:139], -v[134:135]
	v_add_f64_e32 v[30:31], v[16:17], v[18:19]
	ds_load_b128 v[16:19], v252 offset:272
	s_wait_dscnt 0x0
	v_fma_f64 v[32:33], v[32:33], -0.5, v[16:17]
	v_fma_f64 v[34:35], v[34:35], -0.5, v[18:19]
	s_delay_alu instid0(VALU_DEP_2) | instskip(NEXT) | instid1(VALU_DEP_2)
	v_fma_f64 v[36:37], v[52:53], s[14:15], v[32:33]
	v_fma_f64 v[38:39], v[128:129], s[12:13], v[34:35]
	;; [unrolled: 1-line block ×4, first 2 shown]
	s_delay_alu instid0(VALU_DEP_4) | instskip(NEXT) | instid1(VALU_DEP_4)
	v_fma_f64 v[36:37], v[54:55], s[2:3], v[36:37]
	v_fma_f64 v[38:39], v[130:131], s[10:11], v[38:39]
	s_delay_alu instid0(VALU_DEP_4) | instskip(NEXT) | instid1(VALU_DEP_4)
	v_fma_f64 v[32:33], v[54:55], s[10:11], v[32:33]
	v_fma_f64 v[34:35], v[130:131], s[2:3], v[34:35]
	;; [unrolled: 3-line block ×4, first 2 shown]
	v_add_f64_e32 v[32:33], v[44:45], v[136:137]
	v_add_f64_e32 v[34:35], v[46:47], v[138:139]
	s_delay_alu instid0(VALU_DEP_2) | instskip(NEXT) | instid1(VALU_DEP_2)
	v_fma_f64 v[32:33], v[32:33], -0.5, v[16:17]
	v_fma_f64 v[34:35], v[34:35], -0.5, v[18:19]
	v_add_f64_e32 v[16:17], v[16:17], v[44:45]
	v_add_f64_e32 v[18:19], v[18:19], v[46:47]
	s_delay_alu instid0(VALU_DEP_2) | instskip(NEXT) | instid1(VALU_DEP_2)
	v_add_f64_e32 v[16:17], v[16:17], v[48:49]
	v_add_f64_e32 v[18:19], v[18:19], v[50:51]
	v_add_f64_e64 v[48:49], v[50:51], -v[46:47]
	v_add_f64_e64 v[50:51], v[132:133], -v[136:137]
	s_delay_alu instid0(VALU_DEP_4) | instskip(NEXT) | instid1(VALU_DEP_4)
	v_add_f64_e32 v[16:17], v[16:17], v[132:133]
	v_add_f64_e32 v[18:19], v[18:19], v[134:135]
	s_delay_alu instid0(VALU_DEP_2) | instskip(NEXT) | instid1(VALU_DEP_2)
	v_add_f64_e32 v[44:45], v[16:17], v[136:137]
	v_add_f64_e32 v[46:47], v[18:19], v[138:139]
	v_add_f64_e64 v[16:17], v[134:135], -v[138:139]
	v_fma_f64 v[18:19], v[54:55], s[12:13], v[32:33]
	v_fma_f64 v[32:33], v[54:55], s[14:15], v[32:33]
	;; [unrolled: 1-line block ×4, first 2 shown]
	v_add_f64_e32 v[130:131], v[140:141], v[50:51]
	v_add_f64_e64 v[136:137], v[40:41], -v[106:107]
	v_add_f64_e64 v[140:141], v[42:43], -v[104:105]
	;; [unrolled: 1-line block ×3, first 2 shown]
	v_add_f64_e32 v[16:17], v[48:49], v[16:17]
	v_fma_f64 v[18:19], v[52:53], s[2:3], v[18:19]
	v_fma_f64 v[32:33], v[52:53], s[10:11], v[32:33]
	;; [unrolled: 1-line block ×4, first 2 shown]
	s_delay_alu instid0(VALU_DEP_4) | instskip(SKIP_1) | instid1(VALU_DEP_4)
	v_fma_f64 v[48:49], v[130:131], s[16:17], v[18:19]
	v_add_f64_e64 v[18:19], v[104:105], -v[60:61]
	v_fma_f64 v[50:51], v[16:17], s[16:17], v[50:51]
	s_delay_alu instid0(VALU_DEP_4)
	v_fma_f64 v[54:55], v[16:17], s[16:17], v[34:35]
	v_add_f64_e64 v[16:17], v[42:43], -v[62:63]
	v_fma_f64 v[52:53], v[130:131], s[16:17], v[32:33]
	v_add_f64_e64 v[32:33], v[106:107], -v[56:57]
	ds_load_b128 v[128:131], v252 offset:544
	v_add_f64_e32 v[16:17], v[16:17], v[18:19]
	v_add_f64_e64 v[18:19], v[40:41], -v[58:59]
	s_delay_alu instid0(VALU_DEP_1) | instskip(SKIP_2) | instid1(VALU_DEP_1)
	v_add_f64_e32 v[18:19], v[18:19], v[32:33]
	v_add_f64_e32 v[32:33], v[62:63], v[60:61]
	s_wait_dscnt 0x0
	v_fma_f64 v[132:133], v[32:33], -0.5, v[128:129]
	v_add_f64_e32 v[32:33], v[58:59], v[56:57]
	s_delay_alu instid0(VALU_DEP_1) | instskip(NEXT) | instid1(VALU_DEP_3)
	v_fma_f64 v[134:135], v[32:33], -0.5, v[130:131]
	v_fma_f64 v[32:33], v[136:137], s[14:15], v[132:133]
	v_fma_f64 v[132:133], v[136:137], s[12:13], v[132:133]
	s_delay_alu instid0(VALU_DEP_3) | instskip(SKIP_1) | instid1(VALU_DEP_4)
	v_fma_f64 v[34:35], v[140:141], s[12:13], v[134:135]
	v_fma_f64 v[134:135], v[140:141], s[14:15], v[134:135]
	;; [unrolled: 1-line block ×3, first 2 shown]
	s_delay_alu instid0(VALU_DEP_4) | instskip(NEXT) | instid1(VALU_DEP_4)
	v_fma_f64 v[132:133], v[138:139], s[10:11], v[132:133]
	v_fma_f64 v[34:35], v[142:143], s[10:11], v[34:35]
	s_delay_alu instid0(VALU_DEP_4) | instskip(NEXT) | instid1(VALU_DEP_4)
	v_fma_f64 v[134:135], v[142:143], s[2:3], v[134:135]
	v_fma_f64 v[32:33], v[16:17], s[16:17], v[32:33]
	s_delay_alu instid0(VALU_DEP_4) | instskip(SKIP_4) | instid1(VALU_DEP_4)
	v_fma_f64 v[16:17], v[16:17], s[16:17], v[132:133]
	v_add_f64_e32 v[132:133], v[42:43], v[104:105]
	v_fma_f64 v[34:35], v[18:19], s[16:17], v[34:35]
	v_fma_f64 v[18:19], v[18:19], s[16:17], v[134:135]
	v_add_f64_e32 v[134:135], v[40:41], v[106:107]
	v_fma_f64 v[132:133], v[132:133], -0.5, v[128:129]
	v_add_f64_e32 v[128:129], v[128:129], v[42:43]
	v_add_f64_e64 v[42:43], v[62:63], -v[42:43]
	s_delay_alu instid0(VALU_DEP_4) | instskip(SKIP_3) | instid1(VALU_DEP_3)
	v_fma_f64 v[134:135], v[134:135], -0.5, v[130:131]
	v_add_f64_e32 v[130:131], v[130:131], v[40:41]
	v_add_f64_e64 v[40:41], v[58:59], -v[40:41]
	v_add_f64_e32 v[62:63], v[128:129], v[62:63]
	v_add_f64_e32 v[128:129], v[130:131], v[58:59]
	v_fma_f64 v[130:131], v[142:143], s[12:13], v[134:135]
	s_delay_alu instid0(VALU_DEP_3) | instskip(NEXT) | instid1(VALU_DEP_3)
	v_add_f64_e32 v[58:59], v[62:63], v[60:61]
	v_add_f64_e32 v[62:63], v[128:129], v[56:57]
	v_add_f64_e64 v[128:129], v[60:61], -v[104:105]
	s_delay_alu instid0(VALU_DEP_3)
	v_add_f64_e32 v[60:61], v[58:59], v[104:105]
	v_add_f64_e64 v[56:57], v[56:57], -v[106:107]
	v_fma_f64 v[58:59], v[138:139], s[12:13], v[132:133]
	v_fma_f64 v[104:105], v[138:139], s[14:15], v[132:133]
	v_add_f64_e32 v[62:63], v[62:63], v[106:107]
	v_fma_f64 v[106:107], v[142:143], s[14:15], v[134:135]
	v_add_f64_e32 v[42:43], v[42:43], v[128:129]
	v_add_f64_e32 v[128:129], v[40:41], v[56:57]
	v_fma_f64 v[40:41], v[136:137], s[2:3], v[58:59]
	v_fma_f64 v[104:105], v[136:137], s[10:11], v[104:105]
	v_add_f64_e64 v[142:143], v[116:117], -v[118:119]
	v_fma_f64 v[58:59], v[140:141], s[10:11], v[106:107]
	v_fma_f64 v[106:107], v[140:141], s[2:3], v[130:131]
	v_add_f64_e64 v[140:141], v[112:113], -v[126:127]
	;; [unrolled: 3-line block ×4, first 2 shown]
	v_add_f64_e32 v[128:129], v[120:121], v[122:123]
	s_delay_alu instid0(VALU_DEP_2) | instskip(SKIP_2) | instid1(VALU_DEP_1)
	v_add_f64_e32 v[132:133], v[104:105], v[106:107]
	v_add_f64_e64 v[104:105], v[112:113], -v[116:117]
	v_add_f64_e64 v[106:107], v[126:127], -v[118:119]
	v_add_f64_e32 v[134:135], v[104:105], v[106:107]
	ds_load_b128 v[104:107], v252 offset:816
	s_wait_dscnt 0x0
	v_fma_f64 v[136:137], v[128:129], -0.5, v[104:105]
	v_add_f64_e32 v[128:129], v[116:117], v[118:119]
	s_delay_alu instid0(VALU_DEP_1) | instskip(NEXT) | instid1(VALU_DEP_3)
	v_fma_f64 v[138:139], v[128:129], -0.5, v[106:107]
	v_fma_f64 v[128:129], v[140:141], s[14:15], v[136:137]
	v_fma_f64 v[136:137], v[140:141], s[12:13], v[136:137]
	s_delay_alu instid0(VALU_DEP_3) | instskip(SKIP_1) | instid1(VALU_DEP_4)
	v_fma_f64 v[130:131], v[144:145], s[12:13], v[138:139]
	v_fma_f64 v[138:139], v[144:145], s[14:15], v[138:139]
	;; [unrolled: 1-line block ×3, first 2 shown]
	s_delay_alu instid0(VALU_DEP_4) | instskip(NEXT) | instid1(VALU_DEP_4)
	v_fma_f64 v[136:137], v[142:143], s[10:11], v[136:137]
	v_fma_f64 v[130:131], v[146:147], s[10:11], v[130:131]
	s_delay_alu instid0(VALU_DEP_4) | instskip(NEXT) | instid1(VALU_DEP_4)
	v_fma_f64 v[138:139], v[146:147], s[2:3], v[138:139]
	v_fma_f64 v[128:129], v[132:133], s[16:17], v[128:129]
	s_delay_alu instid0(VALU_DEP_4) | instskip(SKIP_4) | instid1(VALU_DEP_4)
	v_fma_f64 v[132:133], v[132:133], s[16:17], v[136:137]
	v_add_f64_e32 v[136:137], v[114:115], v[124:125]
	v_fma_f64 v[130:131], v[134:135], s[16:17], v[130:131]
	v_fma_f64 v[134:135], v[134:135], s[16:17], v[138:139]
	v_add_f64_e32 v[138:139], v[112:113], v[126:127]
	v_fma_f64 v[136:137], v[136:137], -0.5, v[104:105]
	v_add_f64_e32 v[104:105], v[104:105], v[114:115]
	v_add_f64_e64 v[114:115], v[120:121], -v[114:115]
	s_delay_alu instid0(VALU_DEP_4) | instskip(SKIP_4) | instid1(VALU_DEP_4)
	v_fma_f64 v[138:139], v[138:139], -0.5, v[106:107]
	v_add_f64_e32 v[106:107], v[106:107], v[112:113]
	v_add_f64_e64 v[112:113], v[116:117], -v[112:113]
	v_add_f64_e32 v[104:105], v[104:105], v[120:121]
	v_fma_f64 v[120:121], v[142:143], s[12:13], v[136:137]
	v_add_f64_e32 v[106:107], v[106:107], v[116:117]
	v_add_f64_e64 v[116:117], v[122:123], -v[124:125]
	s_delay_alu instid0(VALU_DEP_4) | instskip(SKIP_1) | instid1(VALU_DEP_4)
	v_add_f64_e32 v[104:105], v[104:105], v[122:123]
	v_fma_f64 v[122:123], v[142:143], s[14:15], v[136:137]
	v_add_f64_e32 v[106:107], v[106:107], v[118:119]
	v_add_f64_e64 v[118:119], v[118:119], -v[126:127]
	s_delay_alu instid0(VALU_DEP_4)
	v_add_f64_e32 v[104:105], v[104:105], v[124:125]
	v_fma_f64 v[124:125], v[146:147], s[14:15], v[138:139]
	v_add_f64_e32 v[116:117], v[114:115], v[116:117]
	v_add_f64_e32 v[106:107], v[106:107], v[126:127]
	v_fma_f64 v[126:127], v[146:147], s[12:13], v[138:139]
	v_add_f64_e32 v[118:119], v[112:113], v[118:119]
	v_fma_f64 v[112:113], v[140:141], s[2:3], v[120:121]
	v_fma_f64 v[120:121], v[140:141], s[10:11], v[122:123]
	;; [unrolled: 1-line block ×3, first 2 shown]
	v_add_f64_e32 v[124:125], v[98:99], v[102:103]
	v_add_f64_e64 v[146:147], v[96:97], -v[100:101]
	v_fma_f64 v[122:123], v[144:145], s[2:3], v[126:127]
	v_add_f64_e64 v[144:145], v[92:93], -v[110:111]
	v_fma_f64 v[112:113], v[116:117], s[16:17], v[112:113]
	v_fma_f64 v[116:117], v[116:117], s[16:17], v[120:121]
	;; [unrolled: 1-line block ×3, first 2 shown]
	v_add_f64_e64 v[120:121], v[94:95], -v[98:99]
	v_fma_f64 v[118:119], v[118:119], s[16:17], v[122:123]
	v_add_f64_e64 v[122:123], v[108:109], -v[102:103]
	s_delay_alu instid0(VALU_DEP_1) | instskip(SKIP_2) | instid1(VALU_DEP_1)
	v_add_f64_e32 v[136:137], v[120:121], v[122:123]
	v_add_f64_e64 v[120:121], v[92:93], -v[96:97]
	v_add_f64_e64 v[122:123], v[110:111], -v[100:101]
	v_add_f64_e32 v[138:139], v[120:121], v[122:123]
	ds_load_b128 v[120:123], v252 offset:1088
	s_wait_dscnt 0x0
	v_fma_f64 v[140:141], v[124:125], -0.5, v[120:121]
	v_add_f64_e32 v[124:125], v[96:97], v[100:101]
	s_delay_alu instid0(VALU_DEP_1) | instskip(NEXT) | instid1(VALU_DEP_3)
	v_fma_f64 v[142:143], v[124:125], -0.5, v[122:123]
	v_fma_f64 v[124:125], v[144:145], s[14:15], v[140:141]
	v_fma_f64 v[140:141], v[144:145], s[12:13], v[140:141]
	s_delay_alu instid0(VALU_DEP_3) | instskip(SKIP_1) | instid1(VALU_DEP_4)
	v_fma_f64 v[126:127], v[148:149], s[12:13], v[142:143]
	v_fma_f64 v[142:143], v[148:149], s[14:15], v[142:143]
	;; [unrolled: 1-line block ×3, first 2 shown]
	s_delay_alu instid0(VALU_DEP_4) | instskip(NEXT) | instid1(VALU_DEP_4)
	v_fma_f64 v[140:141], v[146:147], s[10:11], v[140:141]
	v_fma_f64 v[126:127], v[150:151], s[10:11], v[126:127]
	s_delay_alu instid0(VALU_DEP_4) | instskip(NEXT) | instid1(VALU_DEP_4)
	v_fma_f64 v[142:143], v[150:151], s[2:3], v[142:143]
	v_fma_f64 v[124:125], v[136:137], s[16:17], v[124:125]
	s_delay_alu instid0(VALU_DEP_4) | instskip(SKIP_4) | instid1(VALU_DEP_4)
	v_fma_f64 v[136:137], v[136:137], s[16:17], v[140:141]
	v_add_f64_e32 v[140:141], v[94:95], v[108:109]
	v_fma_f64 v[126:127], v[138:139], s[16:17], v[126:127]
	v_fma_f64 v[138:139], v[138:139], s[16:17], v[142:143]
	v_add_f64_e32 v[142:143], v[92:93], v[110:111]
	v_fma_f64 v[140:141], v[140:141], -0.5, v[120:121]
	v_add_f64_e32 v[120:121], v[120:121], v[94:95]
	s_delay_alu instid0(VALU_DEP_3) | instskip(SKIP_1) | instid1(VALU_DEP_3)
	v_fma_f64 v[142:143], v[142:143], -0.5, v[122:123]
	v_add_f64_e32 v[122:123], v[122:123], v[92:93]
	v_add_f64_e32 v[94:95], v[120:121], v[98:99]
	s_delay_alu instid0(VALU_DEP_3) | instskip(NEXT) | instid1(VALU_DEP_3)
	v_fma_f64 v[120:121], v[150:151], s[12:13], v[142:143]
	v_add_f64_e32 v[98:99], v[122:123], v[96:97]
	v_add_f64_e64 v[96:97], v[96:97], -v[92:93]
	s_delay_alu instid0(VALU_DEP_4) | instskip(NEXT) | instid1(VALU_DEP_3)
	v_add_f64_e32 v[92:93], v[94:95], v[102:103]
	v_add_f64_e32 v[94:95], v[98:99], v[100:101]
	v_add_f64_e64 v[98:99], v[102:103], -v[108:109]
	s_delay_alu instid0(VALU_DEP_3)
	v_add_f64_e32 v[92:93], v[92:93], v[108:109]
	v_add_f64_e64 v[100:101], v[100:101], -v[110:111]
	v_fma_f64 v[102:103], v[146:147], s[12:13], v[140:141]
	v_fma_f64 v[108:109], v[146:147], s[14:15], v[140:141]
	v_add_f64_e32 v[94:95], v[94:95], v[110:111]
	v_fma_f64 v[110:111], v[150:151], s[14:15], v[142:143]
	v_add_f64_e32 v[122:123], v[152:153], v[98:99]
	v_add_f64_e32 v[140:141], v[96:97], v[100:101]
	v_fma_f64 v[96:97], v[144:145], s[2:3], v[102:103]
	v_fma_f64 v[100:101], v[144:145], s[10:11], v[108:109]
	;; [unrolled: 1-line block ×3, first 2 shown]
	v_add_f64_e64 v[108:109], v[74:75], -v[80:81]
	v_add_f64_e32 v[120:121], v[80:81], v[86:87]
	v_add_f64_e64 v[152:153], v[74:75], -v[88:89]
	v_add_f64_e64 v[150:151], v[78:79], -v[84:85]
	v_fma_f64 v[98:99], v[148:149], s[10:11], v[110:111]
	v_add_f64_e64 v[110:111], v[88:89], -v[86:87]
	v_add_f64_e64 v[148:149], v[72:73], -v[90:91]
	v_fma_f64 v[96:97], v[122:123], s[16:17], v[96:97]
	v_fma_f64 v[100:101], v[122:123], s[16:17], v[100:101]
	v_fma_f64 v[102:103], v[140:141], s[16:17], v[102:103]
	v_fma_f64 v[98:99], v[140:141], s[16:17], v[98:99]
	v_add_f64_e32 v[140:141], v[108:109], v[110:111]
	v_add_f64_e64 v[108:109], v[72:73], -v[78:79]
	v_add_f64_e64 v[110:111], v[90:91], -v[84:85]
	s_delay_alu instid0(VALU_DEP_1) | instskip(SKIP_4) | instid1(VALU_DEP_1)
	v_add_f64_e32 v[142:143], v[108:109], v[110:111]
	ds_load_b128 v[108:111], v252 offset:1360
	s_wait_dscnt 0x0
	v_fma_f64 v[144:145], v[120:121], -0.5, v[108:109]
	v_add_f64_e32 v[120:121], v[78:79], v[84:85]
	v_fma_f64 v[146:147], v[120:121], -0.5, v[110:111]
	s_delay_alu instid0(VALU_DEP_3) | instskip(SKIP_1) | instid1(VALU_DEP_3)
	v_fma_f64 v[120:121], v[148:149], s[14:15], v[144:145]
	v_fma_f64 v[144:145], v[148:149], s[12:13], v[144:145]
	;; [unrolled: 1-line block ×4, first 2 shown]
	s_delay_alu instid0(VALU_DEP_4) | instskip(NEXT) | instid1(VALU_DEP_4)
	v_fma_f64 v[120:121], v[150:151], s[2:3], v[120:121]
	v_fma_f64 v[144:145], v[150:151], s[10:11], v[144:145]
	s_delay_alu instid0(VALU_DEP_4) | instskip(NEXT) | instid1(VALU_DEP_4)
	v_fma_f64 v[122:123], v[154:155], s[10:11], v[122:123]
	v_fma_f64 v[146:147], v[154:155], s[2:3], v[146:147]
	;; [unrolled: 3-line block ×3, first 2 shown]
	v_add_f64_e32 v[144:145], v[74:75], v[88:89]
	v_fma_f64 v[122:123], v[142:143], s[16:17], v[122:123]
	v_fma_f64 v[142:143], v[142:143], s[16:17], v[146:147]
	v_add_f64_e32 v[146:147], v[72:73], v[90:91]
	s_delay_alu instid0(VALU_DEP_4) | instskip(SKIP_1) | instid1(VALU_DEP_3)
	v_fma_f64 v[144:145], v[144:145], -0.5, v[108:109]
	v_add_f64_e32 v[108:109], v[108:109], v[74:75]
	v_fma_f64 v[146:147], v[146:147], -0.5, v[110:111]
	v_add_f64_e32 v[110:111], v[110:111], v[72:73]
	s_delay_alu instid0(VALU_DEP_3) | instskip(NEXT) | instid1(VALU_DEP_3)
	v_add_f64_e32 v[74:75], v[108:109], v[80:81]
	v_fma_f64 v[108:109], v[154:155], s[12:13], v[146:147]
	s_delay_alu instid0(VALU_DEP_3) | instskip(SKIP_1) | instid1(VALU_DEP_4)
	v_add_f64_e32 v[80:81], v[110:111], v[78:79]
	v_add_f64_e64 v[78:79], v[78:79], -v[72:73]
	v_add_f64_e32 v[72:73], v[74:75], v[86:87]
	s_delay_alu instid0(VALU_DEP_3) | instskip(SKIP_1) | instid1(VALU_DEP_3)
	v_add_f64_e32 v[74:75], v[80:81], v[84:85]
	v_add_f64_e64 v[80:81], v[86:87], -v[88:89]
	v_add_f64_e32 v[72:73], v[72:73], v[88:89]
	v_add_f64_e64 v[84:85], v[84:85], -v[90:91]
	v_fma_f64 v[86:87], v[150:151], s[12:13], v[144:145]
	v_fma_f64 v[88:89], v[150:151], s[14:15], v[144:145]
	v_add_f64_e32 v[74:75], v[74:75], v[90:91]
	v_fma_f64 v[90:91], v[154:155], s[14:15], v[146:147]
	v_add_f64_e32 v[110:111], v[156:157], v[80:81]
	v_add_f64_e32 v[144:145], v[78:79], v[84:85]
	v_fma_f64 v[78:79], v[148:149], s[2:3], v[86:87]
	v_fma_f64 v[84:85], v[148:149], s[10:11], v[88:89]
	;; [unrolled: 1-line block ×3, first 2 shown]
	v_add_f64_e64 v[88:89], v[64:65], -v[68:69]
	v_add_f64_e32 v[108:109], v[68:69], v[70:71]
	v_add_f64_e64 v[156:157], v[64:65], -v[82:83]
	v_add_f64_e64 v[154:155], v[14:15], -v[66:67]
	v_fma_f64 v[80:81], v[152:153], s[10:11], v[90:91]
	v_add_f64_e64 v[90:91], v[82:83], -v[70:71]
	v_add_f64_e64 v[152:153], v[12:13], -v[76:77]
	v_fma_f64 v[78:79], v[110:111], s[16:17], v[78:79]
	v_fma_f64 v[84:85], v[110:111], s[16:17], v[84:85]
	;; [unrolled: 1-line block ×4, first 2 shown]
	v_add_f64_e32 v[144:145], v[88:89], v[90:91]
	v_add_f64_e64 v[88:89], v[12:13], -v[14:15]
	v_add_f64_e64 v[90:91], v[76:77], -v[66:67]
	s_delay_alu instid0(VALU_DEP_1) | instskip(SKIP_4) | instid1(VALU_DEP_1)
	v_add_f64_e32 v[146:147], v[88:89], v[90:91]
	ds_load_b128 v[88:91], v252 offset:1632
	s_wait_dscnt 0x0
	v_fma_f64 v[148:149], v[108:109], -0.5, v[88:89]
	v_add_f64_e32 v[108:109], v[14:15], v[66:67]
	v_fma_f64 v[150:151], v[108:109], -0.5, v[90:91]
	s_delay_alu instid0(VALU_DEP_3) | instskip(SKIP_1) | instid1(VALU_DEP_3)
	v_fma_f64 v[108:109], v[152:153], s[14:15], v[148:149]
	v_fma_f64 v[148:149], v[152:153], s[12:13], v[148:149]
	;; [unrolled: 1-line block ×4, first 2 shown]
	s_delay_alu instid0(VALU_DEP_4) | instskip(NEXT) | instid1(VALU_DEP_4)
	v_fma_f64 v[108:109], v[154:155], s[2:3], v[108:109]
	v_fma_f64 v[148:149], v[154:155], s[10:11], v[148:149]
	s_delay_alu instid0(VALU_DEP_4) | instskip(NEXT) | instid1(VALU_DEP_4)
	v_fma_f64 v[110:111], v[158:159], s[10:11], v[110:111]
	v_fma_f64 v[150:151], v[158:159], s[2:3], v[150:151]
	;; [unrolled: 3-line block ×3, first 2 shown]
	v_add_f64_e32 v[148:149], v[64:65], v[82:83]
	v_fma_f64 v[110:111], v[146:147], s[16:17], v[110:111]
	v_fma_f64 v[146:147], v[146:147], s[16:17], v[150:151]
	v_add_f64_e32 v[150:151], v[12:13], v[76:77]
	s_delay_alu instid0(VALU_DEP_4) | instskip(SKIP_2) | instid1(VALU_DEP_4)
	v_fma_f64 v[148:149], v[148:149], -0.5, v[88:89]
	v_add_f64_e32 v[88:89], v[88:89], v[64:65]
	v_add_f64_e64 v[64:65], v[68:69], -v[64:65]
	v_fma_f64 v[150:151], v[150:151], -0.5, v[90:91]
	v_add_f64_e32 v[90:91], v[90:91], v[12:13]
	v_fma_f64 v[160:161], v[154:155], s[12:13], v[148:149]
	v_add_f64_e32 v[88:89], v[88:89], v[68:69]
	v_fma_f64 v[148:149], v[154:155], s[14:15], v[148:149]
	v_add_f64_e64 v[154:155], v[70:71], -v[82:83]
	v_add_f64_e64 v[12:13], v[14:15], -v[12:13]
	v_add_f64_e32 v[68:69], v[90:91], v[14:15]
	v_add_f64_e64 v[14:15], v[66:67], -v[76:77]
	v_add_f64_e32 v[88:89], v[88:89], v[70:71]
	v_add_f64_e32 v[64:65], v[64:65], v[154:155]
	s_delay_alu instid0(VALU_DEP_4) | instskip(SKIP_1) | instid1(VALU_DEP_4)
	v_add_f64_e32 v[90:91], v[68:69], v[66:67]
	v_fma_f64 v[66:67], v[158:159], s[14:15], v[150:151]
	v_add_f64_e32 v[68:69], v[88:89], v[82:83]
	v_fma_f64 v[82:83], v[152:153], s[2:3], v[160:161]
	v_fma_f64 v[88:89], v[152:153], s[10:11], v[148:149]
	s_mov_b32 s14, 0x5476071b
	s_mov_b32 s15, 0x3fe77f67
	s_wait_alu 0xfffe
	s_mov_b32 s22, s14
	v_add_f64_e32 v[70:71], v[90:91], v[76:77]
	v_fma_f64 v[76:77], v[158:159], s[12:13], v[150:151]
	v_add_f64_e32 v[90:91], v[12:13], v[14:15]
	v_fma_f64 v[14:15], v[156:157], s[10:11], v[66:67]
	v_fma_f64 v[12:13], v[64:65], s[16:17], v[82:83]
	;; [unrolled: 1-line block ×3, first 2 shown]
	s_mov_b32 s12, 0xe976ee23
	s_mov_b32 s10, 0x429ad128
	;; [unrolled: 1-line block ×4, first 2 shown]
	v_fma_f64 v[66:67], v[156:157], s[2:3], v[76:77]
	v_lshl_add_u32 v76, v162, 4, v208
	v_fma_f64 v[14:15], v[90:91], s[16:17], v[14:15]
	ds_store_b128 v76, v[4:7] offset:1904
	ds_store_b128 v76, v[20:23] offset:3808
	ds_store_b128 v76, v[24:27] offset:5712
	ds_store_b128 v76, v[0:3] offset:7616
	ds_store_b128 v252, v[8:11]
	ds_store_b128 v252, v[44:47] offset:272
	ds_store_b128 v76, v[36:39] offset:2176
	;; [unrolled: 1-line block ×4, first 2 shown]
	scratch_store_b32 off, v76, off offset:1296 ; 4-byte Folded Spill
	s_add_nc_u64 s[2:3], s[8:9], 0x2530
	s_mov_b32 s8, 0x36b3c0b5
	s_mov_b32 s9, 0x3fac98ee
	v_fma_f64 v[66:67], v[90:91], s[16:17], v[66:67]
	ds_store_b128 v76, v[28:31] offset:7888
	ds_store_b128 v252, v[60:63] offset:544
	ds_store_b128 v252, v[104:107] offset:816
	ds_store_b128 v252, v[56:59] offset:4352
	ds_store_b128 v252, v[112:115] offset:4624
	ds_store_b128 v252, v[16:19] offset:8160
	ds_store_b128 v252, v[132:135] offset:8432
	ds_store_b128 v252, v[128:131] offset:2720
	ds_store_b128 v252, v[124:127] offset:2992
	ds_store_b128 v252, v[116:119] offset:6528
	ds_store_b128 v252, v[100:103] offset:6800
	ds_store_b128 v252, v[92:95] offset:1088
	ds_store_b128 v252, v[72:75] offset:1360
	ds_store_b128 v252, v[96:99] offset:4896
	ds_store_b128 v252, v[78:81] offset:5168
	ds_store_b128 v252, v[136:139] offset:8704
	ds_store_b128 v252, v[140:143] offset:8976
	ds_store_b128 v252, v[32:35] offset:2448
	ds_store_b128 v252, v[68:71] offset:1632
	ds_store_b128 v252, v[120:123] offset:3264
	ds_store_b128 v252, v[108:111] offset:3536
	ds_store_b128 v252, v[40:43] offset:6256
	ds_store_b128 v252, v[12:15] offset:5440
	ds_store_b128 v252, v[84:87] offset:7072
	ds_store_b128 v252, v[64:67] offset:7344
	ds_store_b128 v252, v[144:147] offset:9248
	global_wb scope:SCOPE_SE
	s_wait_storecnt_dscnt 0x0
	s_barrier_signal -1
	s_barrier_wait -1
	global_inv scope:SCOPE_SE
	scratch_load_b64 v[0:1], off, off offset:1864 th:TH_LOAD_LU ; 8-byte Folded Reload
	ds_load_b128 v[8:11], v252 offset:1360
	ds_load_b128 v[170:173], v252 offset:1088
	;; [unrolled: 1-line block ×29, first 2 shown]
	s_mov_b32 s16, 0xb247c609
	s_mov_b32 s17, 0xbfd5d0dc
	s_wait_alu 0xfffe
	s_mov_b32 s24, s16
	ds_load_b128 v[44:47], v252 offset:272
	ds_load_b128 v[152:155], v252 offset:6256
	;; [unrolled: 1-line block ×3, first 2 shown]
	s_wait_loadcnt 0x0
	global_load_b128 v[108:111], v[0:1], off offset:9520
	ds_load_b128 v[0:3], v252
	s_wait_loadcnt_dscnt 0x0
	v_mul_f64_e32 v[4:5], v[2:3], v[110:111]
	v_mul_f64_e32 v[6:7], v[0:1], v[110:111]
	ds_load_b128 v[110:113], v252 offset:5984
	v_fma_f64 v[0:1], v[0:1], v[108:109], -v[4:5]
	v_fma_f64 v[2:3], v[2:3], v[108:109], v[6:7]
	global_load_b128 v[4:7], v204, s[2:3] offset:1360
	s_wait_loadcnt 0x0
	v_mul_f64_e32 v[12:13], v[10:11], v[6:7]
	v_mul_f64_e32 v[14:15], v[8:9], v[6:7]
	s_delay_alu instid0(VALU_DEP_2) | instskip(NEXT) | instid1(VALU_DEP_2)
	v_fma_f64 v[6:7], v[8:9], v[4:5], -v[12:13]
	v_fma_f64 v[8:9], v[10:11], v[4:5], v[14:15]
	global_load_b128 v[10:13], v204, s[2:3] offset:2720
	ds_load_b128 v[14:17], v252 offset:2720
	s_wait_loadcnt_dscnt 0x0
	v_mul_f64_e32 v[4:5], v[16:17], v[12:13]
	v_mul_f64_e32 v[18:19], v[14:15], v[12:13]
	s_delay_alu instid0(VALU_DEP_2) | instskip(NEXT) | instid1(VALU_DEP_2)
	v_fma_f64 v[12:13], v[14:15], v[10:11], -v[4:5]
	v_fma_f64 v[14:15], v[16:17], v[10:11], v[18:19]
	global_load_b128 v[16:19], v204, s[2:3] offset:4080
	s_wait_loadcnt 0x0
	v_mul_f64_e32 v[4:5], v[22:23], v[18:19]
	v_mul_f64_e32 v[10:11], v[20:21], v[18:19]
	s_delay_alu instid0(VALU_DEP_2) | instskip(NEXT) | instid1(VALU_DEP_2)
	v_fma_f64 v[18:19], v[20:21], v[16:17], -v[4:5]
	v_fma_f64 v[20:21], v[22:23], v[16:17], v[10:11]
	global_load_b128 v[22:25], v204, s[2:3] offset:5440
	s_wait_loadcnt 0x0
	;; [unrolled: 7-line block ×31, first 2 shown]
	v_mul_f64_e32 v[4:5], v[202:203], v[198:199]
	v_mul_f64_e32 v[10:11], v[200:201], v[198:199]
	s_delay_alu instid0(VALU_DEP_2) | instskip(NEXT) | instid1(VALU_DEP_2)
	v_fma_f64 v[198:199], v[200:201], v[196:197], -v[4:5]
	v_fma_f64 v[200:201], v[202:203], v[196:197], v[10:11]
	global_load_b128 v[202:205], v204, s[2:3] offset:9248
	s_mov_b32 s2, 0x37c3f68c
	s_mov_b32 s3, 0xbfdc38aa
	s_wait_loadcnt 0x0
	v_mul_f64_e32 v[4:5], v[208:209], v[204:205]
	v_mul_f64_e32 v[10:11], v[206:207], v[204:205]
	s_delay_alu instid0(VALU_DEP_2) | instskip(NEXT) | instid1(VALU_DEP_2)
	v_fma_f64 v[204:205], v[206:207], v[202:203], -v[4:5]
	v_fma_f64 v[206:207], v[208:209], v[202:203], v[10:11]
	ds_store_b128 v252, v[0:3]
	ds_store_b128 v252, v[42:45] offset:272
	ds_store_b128 v252, v[12:15] offset:2720
	;; [unrolled: 1-line block ×34, first 2 shown]
	global_wb scope:SCOPE_SE
	s_wait_dscnt 0x0
	s_barrier_signal -1
	s_barrier_wait -1
	global_inv scope:SCOPE_SE
	ds_load_b128 v[4:7], v252 offset:1360
	ds_load_b128 v[8:11], v252 offset:8160
	s_wait_dscnt 0x0
	v_add_f64_e32 v[0:1], v[4:5], v[8:9]
	v_add_f64_e32 v[2:3], v[6:7], v[10:11]
	v_add_f64_e64 v[4:5], v[4:5], -v[8:9]
	v_add_f64_e64 v[6:7], v[6:7], -v[10:11]
	ds_load_b128 v[8:11], v252 offset:6800
	ds_load_b128 v[12:15], v252 offset:2720
	s_wait_dscnt 0x0
	v_add_f64_e32 v[118:119], v[12:13], v[8:9]
	v_add_f64_e32 v[116:117], v[14:15], v[10:11]
	v_add_f64_e64 v[106:107], v[12:13], -v[8:9]
	v_add_f64_e64 v[104:105], v[14:15], -v[10:11]
	;; [unrolled: 7-line block ×3, first 2 shown]
	ds_load_b128 v[12:15], v252 offset:8432
	ds_load_b128 v[16:19], v252 offset:1632
	v_add_f64_e64 v[128:129], v[118:119], -v[0:1]
	v_add_f64_e64 v[132:133], v[116:117], -v[2:3]
	;; [unrolled: 1-line block ×4, first 2 shown]
	s_wait_dscnt 0x0
	v_add_f64_e32 v[8:9], v[16:17], v[12:13]
	v_add_f64_e32 v[10:11], v[18:19], v[14:15]
	v_add_f64_e64 v[12:13], v[16:17], -v[12:13]
	v_add_f64_e64 v[14:15], v[18:19], -v[14:15]
	ds_load_b128 v[16:19], v252 offset:2992
	ds_load_b128 v[20:23], v252 offset:7072
	v_add_f64_e64 v[130:131], v[108:109], -v[118:119]
	v_add_f64_e64 v[134:135], v[110:111], -v[116:117]
	;; [unrolled: 1-line block ×3, first 2 shown]
	s_wait_dscnt 0x0
	v_add_f64_e32 v[70:71], v[16:17], v[20:21]
	v_add_f64_e32 v[60:61], v[18:19], v[22:23]
	v_add_f64_e64 v[50:51], v[16:17], -v[20:21]
	v_add_f64_e64 v[48:49], v[18:19], -v[22:23]
	ds_load_b128 v[16:19], v252 offset:5712
	ds_load_b128 v[20:23], v252 offset:4352
	s_wait_dscnt 0x0
	v_add_f64_e32 v[24:25], v[20:21], v[16:17]
	v_add_f64_e32 v[26:27], v[22:23], v[18:19]
	v_add_f64_e64 v[28:29], v[16:17], -v[20:21]
	v_add_f64_e64 v[30:31], v[18:19], -v[22:23]
	ds_load_b128 v[20:23], v252 offset:1904
	ds_load_b128 v[32:35], v252 offset:8704
	v_mul_f64_e32 v[138:139], s[12:13], v[138:139]
	s_wait_dscnt 0x0
	v_add_f64_e32 v[16:17], v[20:21], v[32:33]
	v_add_f64_e32 v[18:19], v[22:23], v[34:35]
	v_add_f64_e64 v[20:21], v[20:21], -v[32:33]
	v_add_f64_e64 v[22:23], v[22:23], -v[34:35]
	ds_load_b128 v[32:35], v252 offset:7344
	ds_load_b128 v[36:39], v252 offset:3264
	s_wait_dscnt 0x0
	v_add_f64_e32 v[86:87], v[36:37], v[32:33]
	v_add_f64_e32 v[76:77], v[38:39], v[34:35]
	v_add_f64_e64 v[74:75], v[36:37], -v[32:33]
	v_add_f64_e64 v[72:73], v[38:39], -v[34:35]
	ds_load_b128 v[32:35], v252 offset:4624
	ds_load_b128 v[36:39], v252 offset:5984
	;; [unrolled: 7-line block ×8, first 2 shown]
	s_wait_dscnt 0x0
	v_add_f64_e32 v[78:79], v[82:83], v[120:121]
	v_add_f64_e64 v[82:83], v[120:121], -v[82:83]
	v_add_f64_e32 v[120:121], v[118:119], v[0:1]
	v_add_f64_e64 v[118:119], v[112:113], -v[106:107]
	v_add_f64_e64 v[0:1], v[0:1], -v[108:109]
	v_add_f64_e32 v[80:81], v[84:85], v[122:123]
	v_add_f64_e64 v[84:85], v[122:123], -v[84:85]
	v_add_f64_e32 v[124:125], v[108:109], v[120:121]
	v_add_f64_e32 v[120:121], v[116:117], v[2:3]
	;; [unrolled: 1-line block ×4, first 2 shown]
	v_add_f64_e64 v[2:3], v[2:3], -v[110:111]
	v_mul_f64_e32 v[146:147], s[12:13], v[118:119]
	v_mul_f64_e32 v[108:109], s[10:11], v[136:137]
	;; [unrolled: 1-line block ×4, first 2 shown]
	v_add_f64_e32 v[126:127], v[110:111], v[120:121]
	ds_load_b128 v[120:123], v252
	v_add_f64_e32 v[142:143], v[116:117], v[4:5]
	v_add_f64_e32 v[144:145], v[106:107], v[6:7]
	v_add_f64_e64 v[4:5], v[4:5], -v[112:113]
	v_add_f64_e64 v[6:7], v[6:7], -v[114:115]
	v_mul_f64_e32 v[110:111], s[10:11], v[140:141]
	v_mul_f64_e32 v[2:3], s[20:21], v[2:3]
	;; [unrolled: 1-line block ×3, first 2 shown]
	v_fma_f64 v[112:113], v[128:129], s[22:23], -v[0:1]
	v_fma_f64 v[0:1], v[130:131], s[8:9], v[0:1]
	v_fma_f64 v[104:105], v[128:129], s[14:15], -v[104:105]
	v_fma_f64 v[116:117], v[136:137], s[10:11], -v[146:147]
	s_wait_dscnt 0x0
	v_add_f64_e32 v[120:121], v[120:121], v[124:125]
	v_add_f64_e32 v[122:123], v[122:123], v[126:127]
	s_wait_alu 0xfffe
	v_fma_f64 v[108:109], v[4:5], s[24:25], -v[108:109]
	v_fma_f64 v[4:5], v[4:5], s[16:17], v[146:147]
	v_fma_f64 v[110:111], v[6:7], s[24:25], -v[110:111]
	v_fma_f64 v[114:115], v[132:133], s[22:23], -v[2:3]
	v_fma_f64 v[6:7], v[6:7], s[16:17], v[138:139]
	v_fma_f64 v[2:3], v[134:135], s[8:9], v[2:3]
	v_fma_f64 v[106:107], v[132:133], s[14:15], -v[106:107]
	v_fma_f64 v[118:119], v[142:143], s[2:3], v[116:117]
	v_fma_f64 v[116:117], v[140:141], s[10:11], -v[138:139]
	v_fma_f64 v[124:125], v[124:125], s[18:19], v[120:121]
	v_fma_f64 v[126:127], v[126:127], s[18:19], v[122:123]
	v_fma_f64 v[128:129], v[142:143], s[2:3], v[108:109]
	v_fma_f64 v[4:5], v[142:143], s[2:3], v[4:5]
	v_fma_f64 v[132:133], v[144:145], s[2:3], v[110:111]
	v_fma_f64 v[6:7], v[144:145], s[2:3], v[6:7]
	v_fma_f64 v[116:117], v[144:145], s[2:3], v[116:117]
	v_add_f64_e32 v[112:113], v[112:113], v[124:125]
	v_add_f64_e32 v[0:1], v[0:1], v[124:125]
	;; [unrolled: 1-line block ×7, first 2 shown]
	v_add_f64_e64 v[112:113], v[112:113], -v[132:133]
	v_add_f64_e32 v[124:125], v[0:1], v[6:7]
	v_add_f64_e64 v[104:105], v[148:149], -v[116:117]
	v_add_f64_e32 v[116:117], v[148:149], v[116:117]
	;; [unrolled: 2-line block ×3, first 2 shown]
	v_add_f64_e64 v[126:127], v[2:3], -v[4:5]
	v_add_f64_e64 v[128:129], v[0:1], -v[6:7]
	v_add_f64_e32 v[130:131], v[4:5], v[2:3]
	ds_load_b128 v[0:3], v252 offset:1088
	ds_load_b128 v[132:135], v252 offset:272
	;; [unrolled: 1-line block ×4, first 2 shown]
	global_wb scope:SCOPE_SE
	s_wait_dscnt 0x0
	s_barrier_signal -1
	s_barrier_wait -1
	global_inv scope:SCOPE_SE
	scratch_load_b32 v140, off, off offset:1336 th:TH_LOAD_LU ; 4-byte Folded Reload
	v_add_f64_e32 v[106:107], v[118:119], v[150:151]
	v_add_f64_e64 v[118:119], v[150:151], -v[118:119]
	s_wait_loadcnt 0x0
	ds_store_b128 v140, v[120:123]
	ds_store_b128 v140, v[124:127] offset:16
	ds_store_b128 v140, v[108:111] offset:32
	;; [unrolled: 1-line block ×6, first 2 shown]
	v_add_f64_e32 v[104:105], v[70:71], v[8:9]
	v_add_f64_e64 v[114:115], v[60:61], -v[10:11]
	v_add_f64_e32 v[116:117], v[28:29], v[50:51]
	v_add_f64_e64 v[118:119], v[28:29], -v[50:51]
	v_add_f64_e64 v[120:121], v[50:51], -v[12:13]
	v_add_f64_e32 v[50:51], v[30:31], v[48:49]
	v_add_f64_e64 v[124:125], v[48:49], -v[14:15]
	v_add_f64_e64 v[112:113], v[70:71], -v[8:9]
	v_add_f64_e64 v[70:71], v[24:25], -v[70:71]
	v_add_f64_e64 v[122:123], v[30:31], -v[48:49]
	v_add_f64_e64 v[8:9], v[8:9], -v[24:25]
	v_add_f64_e32 v[108:109], v[24:25], v[104:105]
	v_add_f64_e32 v[104:105], v[60:61], v[10:11]
	v_add_f64_e64 v[10:11], v[10:11], -v[26:27]
	v_add_f64_e64 v[60:61], v[26:27], -v[60:61]
	v_add_f64_e32 v[116:117], v[116:117], v[12:13]
	v_add_f64_e32 v[126:127], v[50:51], v[14:15]
	v_mul_f64_e32 v[118:119], s[12:13], v[118:119]
	v_add_f64_e64 v[24:25], v[12:13], -v[28:29]
	v_mul_f64_e32 v[12:13], s[10:11], v[120:121]
	v_mul_f64_e32 v[122:123], s[12:13], v[122:123]
	;; [unrolled: 1-line block ×4, first 2 shown]
	v_add_f64_e32 v[110:111], v[26:27], v[104:105]
	v_add_f64_e64 v[26:27], v[14:15], -v[30:31]
	v_mul_f64_e32 v[14:15], s[10:11], v[124:125]
	v_mul_f64_e32 v[30:31], s[20:21], v[10:11]
	;; [unrolled: 1-line block ×3, first 2 shown]
	v_add_f64_e32 v[104:105], v[132:133], v[108:109]
	v_fma_f64 v[8:9], v[24:25], s[24:25], -v[12:13]
	v_fma_f64 v[24:25], v[24:25], s[16:17], v[118:119]
	v_fma_f64 v[12:13], v[112:113], s[22:23], -v[28:29]
	v_fma_f64 v[28:29], v[70:71], s[8:9], v[28:29]
	v_fma_f64 v[48:49], v[112:113], s[14:15], -v[48:49]
	v_add_f64_e32 v[106:107], v[134:135], v[110:111]
	v_fma_f64 v[10:11], v[26:27], s[24:25], -v[14:15]
	v_fma_f64 v[14:15], v[114:115], s[22:23], -v[30:31]
	v_fma_f64 v[30:31], v[60:61], s[8:9], v[30:31]
	v_fma_f64 v[26:27], v[26:27], s[16:17], v[122:123]
	;; [unrolled: 1-line block ×3, first 2 shown]
	v_fma_f64 v[108:109], v[120:121], s[10:11], -v[118:119]
	v_fma_f64 v[60:61], v[116:117], s[2:3], v[24:25]
	v_fma_f64 v[50:51], v[114:115], s[14:15], -v[50:51]
	v_fma_f64 v[112:113], v[116:117], s[2:3], v[8:9]
	v_fma_f64 v[130:131], v[110:111], s[18:19], v[106:107]
	;; [unrolled: 1-line block ×4, first 2 shown]
	v_add_f64_e32 v[28:29], v[28:29], v[128:129]
	v_fma_f64 v[110:111], v[116:117], s[2:3], v[108:109]
	v_fma_f64 v[108:109], v[124:125], s[10:11], -v[122:123]
	v_add_f64_e32 v[12:13], v[12:13], v[128:129]
	v_add_f64_e32 v[132:133], v[48:49], v[128:129]
	;; [unrolled: 1-line block ×6, first 2 shown]
	v_add_f64_e64 v[28:29], v[28:29], -v[70:71]
	v_fma_f64 v[108:109], v[126:127], s[2:3], v[108:109]
	v_add_f64_e32 v[8:9], v[12:13], v[114:115]
	v_add_f64_e64 v[12:13], v[12:13], -v[114:115]
	v_add_f64_e32 v[70:71], v[46:47], v[72:73]
	v_add_f64_e64 v[26:27], v[30:31], -v[60:61]
	v_add_f64_e32 v[30:31], v[60:61], v[30:31]
	scratch_load_b32 v60, off, off offset:1620 th:TH_LOAD_LU ; 4-byte Folded Reload
	v_add_f64_e64 v[10:11], v[14:15], -v[112:113]
	v_add_f64_e32 v[50:51], v[110:111], v[134:135]
	v_add_f64_e64 v[110:111], v[134:135], -v[110:111]
	v_add_f64_e32 v[14:15], v[112:113], v[14:15]
	;; [unrolled: 2-line block ×3, first 2 shown]
	s_wait_loadcnt 0x0
	ds_store_b128 v60, v[104:107]
	ds_store_b128 v60, v[24:27] offset:16
	ds_store_b128 v60, v[8:11] offset:32
	;; [unrolled: 1-line block ×6, first 2 shown]
	v_add_f64_e32 v[8:9], v[86:87], v[16:17]
	v_add_f64_e64 v[48:49], v[76:77], -v[18:19]
	v_add_f64_e32 v[24:25], v[44:45], v[74:75]
	v_add_f64_e64 v[26:27], v[44:45], -v[74:75]
	v_add_f64_e64 v[60:61], v[74:75], -v[20:21]
	;; [unrolled: 1-line block ×7, first 2 shown]
	v_add_f64_e32 v[70:71], v[70:71], v[22:23]
	v_add_f64_e64 v[16:17], v[16:17], -v[40:41]
	v_add_f64_e32 v[12:13], v[40:41], v[8:9]
	v_add_f64_e32 v[8:9], v[76:77], v[18:19]
	v_add_f64_e64 v[18:19], v[18:19], -v[42:43]
	v_add_f64_e32 v[76:77], v[24:25], v[20:21]
	v_add_f64_e64 v[40:41], v[20:21], -v[44:45]
	v_mul_f64_e32 v[20:21], s[10:11], v[60:61]
	v_mul_f64_e32 v[86:87], s[12:13], v[26:27]
	;; [unrolled: 1-line block ×6, first 2 shown]
	v_add_f64_e32 v[14:15], v[42:43], v[8:9]
	v_add_f64_e64 v[42:43], v[22:23], -v[46:47]
	v_mul_f64_e32 v[22:23], s[10:11], v[72:73]
	v_mul_f64_e32 v[46:47], s[20:21], v[18:19]
	v_fma_f64 v[16:17], v[40:41], s[24:25], -v[20:21]
	v_add_f64_e32 v[8:9], v[136:137], v[12:13]
	v_fma_f64 v[24:25], v[28:29], s[14:15], -v[24:25]
	v_fma_f64 v[26:27], v[48:49], s[14:15], -v[26:27]
	;; [unrolled: 1-line block ×3, first 2 shown]
	v_fma_f64 v[30:31], v[30:31], s[8:9], v[44:45]
	v_add_f64_e32 v[10:11], v[138:139], v[14:15]
	v_fma_f64 v[18:19], v[42:43], s[24:25], -v[22:23]
	v_fma_f64 v[22:23], v[48:49], s[22:23], -v[46:47]
	v_fma_f64 v[28:29], v[76:77], s[2:3], v[16:17]
	v_fma_f64 v[104:105], v[12:13], s[18:19], v[8:9]
	v_fma_f64 v[12:13], v[60:61], s[10:11], -v[86:87]
	v_fma_f64 v[106:107], v[14:15], s[18:19], v[10:11]
	v_fma_f64 v[48:49], v[70:71], s[2:3], v[18:19]
	s_delay_alu instid0(VALU_DEP_4) | instskip(NEXT) | instid1(VALU_DEP_4)
	v_add_f64_e32 v[20:21], v[20:21], v[104:105]
	v_fma_f64 v[108:109], v[76:77], s[2:3], v[12:13]
	v_fma_f64 v[12:13], v[72:73], s[10:11], -v[74:75]
	v_add_f64_e32 v[24:25], v[24:25], v[104:105]
	v_add_f64_e32 v[22:23], v[22:23], v[106:107]
	;; [unrolled: 1-line block ×4, first 2 shown]
	v_add_f64_e64 v[20:21], v[20:21], -v[48:49]
	v_fma_f64 v[110:111], v[70:71], s[2:3], v[12:13]
	v_add_f64_e64 v[18:19], v[22:23], -v[28:29]
	v_add_f64_e32 v[22:23], v[28:29], v[22:23]
	v_fma_f64 v[28:29], v[40:41], s[16:17], v[86:87]
	v_fma_f64 v[40:41], v[42:43], s[16:17], v[74:75]
	;; [unrolled: 1-line block ×3, first 2 shown]
	v_add_f64_e32 v[46:47], v[30:31], v[104:105]
	v_add_f64_e32 v[14:15], v[108:109], v[26:27]
	v_add_f64_e64 v[12:13], v[24:25], -v[110:111]
	v_add_f64_e32 v[24:25], v[24:25], v[110:111]
	v_add_f64_e64 v[26:27], v[26:27], -v[108:109]
	v_fma_f64 v[44:45], v[76:77], s[2:3], v[28:29]
	v_fma_f64 v[40:41], v[70:71], s[2:3], v[40:41]
	v_add_f64_e32 v[42:43], v[42:43], v[106:107]
	s_delay_alu instid0(VALU_DEP_2) | instskip(NEXT) | instid1(VALU_DEP_2)
	v_add_f64_e32 v[28:29], v[46:47], v[40:41]
	v_add_f64_e64 v[30:31], v[42:43], -v[44:45]
	v_add_f64_e32 v[42:43], v[44:45], v[42:43]
	scratch_load_b32 v44, off, off offset:1600 th:TH_LOAD_LU ; 4-byte Folded Reload
	v_add_f64_e64 v[40:41], v[46:47], -v[40:41]
	s_wait_loadcnt 0x0
	ds_store_b128 v44, v[8:11]
	ds_store_b128 v44, v[28:31] offset:16
	ds_store_b128 v44, v[16:19] offset:32
	;; [unrolled: 1-line block ×6, first 2 shown]
	v_add_f64_e32 v[8:9], v[96:97], v[32:33]
	v_add_f64_e32 v[10:11], v[94:95], v[34:35]
	v_add_f64_e64 v[26:27], v[64:65], -v[94:95]
	v_add_f64_e64 v[14:15], v[66:67], -v[90:91]
	;; [unrolled: 1-line block ×3, first 2 shown]
	v_add_f64_e32 v[12:13], v[66:67], v[90:91]
	v_add_f64_e64 v[20:21], v[90:91], -v[36:37]
	v_add_f64_e32 v[22:23], v[68:69], v[88:89]
	v_add_f64_e64 v[28:29], v[68:69], -v[88:89]
	v_add_f64_e64 v[16:17], v[96:97], -v[32:33]
	;; [unrolled: 1-line block ×4, first 2 shown]
	v_add_f64_e32 v[8:9], v[62:63], v[8:9]
	v_add_f64_e32 v[10:11], v[64:65], v[10:11]
	v_mul_f64_e32 v[44:45], s[12:13], v[14:15]
	v_mul_f64_e32 v[14:15], s[8:9], v[26:27]
	v_add_f64_e32 v[40:41], v[12:13], v[36:37]
	v_add_f64_e32 v[42:43], v[22:23], v[38:39]
	v_mul_f64_e32 v[28:29], s[12:13], v[28:29]
	v_mul_f64_e32 v[12:13], s[8:9], v[24:25]
	v_add_f64_e32 v[4:5], v[4:5], v[8:9]
	v_add_f64_e32 v[6:7], v[6:7], v[10:11]
	v_fma_f64 v[14:15], v[18:19], s[14:15], -v[14:15]
	s_delay_alu instid0(VALU_DEP_4) | instskip(NEXT) | instid1(VALU_DEP_4)
	v_fma_f64 v[12:13], v[16:17], s[14:15], -v[12:13]
	v_fma_f64 v[46:47], v[8:9], s[18:19], v[4:5]
	s_delay_alu instid0(VALU_DEP_4) | instskip(SKIP_2) | instid1(VALU_DEP_4)
	v_fma_f64 v[48:49], v[10:11], s[18:19], v[6:7]
	v_fma_f64 v[8:9], v[20:21], s[10:11], -v[44:45]
	v_mul_f64_e32 v[20:21], s[10:11], v[20:21]
	v_add_f64_e32 v[12:13], v[12:13], v[46:47]
	s_delay_alu instid0(VALU_DEP_4) | instskip(NEXT) | instid1(VALU_DEP_4)
	v_add_f64_e32 v[14:15], v[14:15], v[48:49]
	v_fma_f64 v[22:23], v[40:41], s[2:3], v[8:9]
	v_fma_f64 v[8:9], v[30:31], s[10:11], -v[28:29]
	v_mul_f64_e32 v[30:31], s[10:11], v[30:31]
	s_delay_alu instid0(VALU_DEP_3)
	v_add_f64_e32 v[10:11], v[22:23], v[14:15]
	v_add_f64_e64 v[14:15], v[14:15], -v[22:23]
	v_add_f64_e64 v[22:23], v[32:33], -v[62:63]
	;; [unrolled: 1-line block ×5, first 2 shown]
	v_fma_f64 v[50:51], v[42:43], s[2:3], v[8:9]
	v_mul_f64_e32 v[38:39], s[20:21], v[22:23]
	v_mul_f64_e32 v[32:33], s[20:21], v[32:33]
	v_fma_f64 v[20:21], v[34:35], s[24:25], -v[20:21]
	v_fma_f64 v[28:29], v[36:37], s[16:17], v[28:29]
	v_fma_f64 v[22:23], v[36:37], s[24:25], -v[30:31]
	v_add_f64_e64 v[8:9], v[12:13], -v[50:51]
	v_add_f64_e32 v[12:13], v[12:13], v[50:51]
	v_fma_f64 v[24:25], v[24:25], s[8:9], v[38:39]
	v_fma_f64 v[18:19], v[18:19], s[22:23], -v[32:33]
	v_fma_f64 v[26:27], v[26:27], s[8:9], v[32:33]
	v_fma_f64 v[28:29], v[42:43], s[2:3], v[28:29]
	v_fma_f64 v[16:17], v[16:17], s[22:23], -v[38:39]
	v_fma_f64 v[22:23], v[42:43], s[2:3], v[22:23]
	v_fma_f64 v[30:31], v[40:41], s[2:3], v[20:21]
	v_add_f64_e64 v[42:43], v[58:59], -v[84:85]
	v_add_f64_e32 v[32:33], v[24:25], v[46:47]
	v_add_f64_e32 v[50:51], v[18:19], v[48:49]
	;; [unrolled: 1-line block ×3, first 2 shown]
	s_delay_alu instid0(VALU_DEP_3)
	v_add_f64_e32 v[24:25], v[32:33], v[28:29]
	v_add_f64_e64 v[28:29], v[32:33], -v[28:29]
	scratch_load_b32 v32, off, off offset:1544 th:TH_LOAD_LU ; 4-byte Folded Reload
	v_add_f64_e64 v[18:19], v[50:51], -v[30:31]
	v_add_f64_e32 v[16:17], v[20:21], v[22:23]
	v_add_f64_e64 v[20:21], v[20:21], -v[22:23]
	v_add_f64_e32 v[22:23], v[30:31], v[50:51]
	v_fma_f64 v[30:31], v[34:35], s[16:17], v[44:45]
	v_add_f64_e32 v[34:35], v[26:27], v[48:49]
	s_delay_alu instid0(VALU_DEP_2) | instskip(SKIP_1) | instid1(VALU_DEP_2)
	v_fma_f64 v[30:31], v[40:41], s[2:3], v[30:31]
	v_add_f64_e64 v[40:41], v[56:57], -v[82:83]
	v_add_f64_e64 v[26:27], v[34:35], -v[30:31]
	v_add_f64_e32 v[30:31], v[30:31], v[34:35]
	s_wait_loadcnt 0x0
	ds_store_b128 v32, v[4:7]
	ds_store_b128 v32, v[24:27] offset:16
	ds_store_b128 v32, v[16:19] offset:32
	;; [unrolled: 1-line block ×6, first 2 shown]
	v_add_f64_e32 v[4:5], v[102:103], v[52:53]
	v_add_f64_e64 v[20:21], v[78:79], -v[102:103]
	v_add_f64_e64 v[12:13], v[102:103], -v[52:53]
	;; [unrolled: 1-line block ×3, first 2 shown]
	v_add_f64_e32 v[10:11], v[84:85], v[98:99]
	v_add_f64_e64 v[16:17], v[98:99], -v[58:59]
	v_add_f64_e64 v[18:19], v[82:83], -v[92:93]
	;; [unrolled: 1-line block ×3, first 2 shown]
	v_add_f64_e32 v[6:7], v[100:101], v[54:55]
	v_add_f64_e64 v[22:23], v[80:81], -v[100:101]
	v_add_f64_e64 v[14:15], v[100:101], -v[54:55]
	v_add_f64_e32 v[4:5], v[78:79], v[4:5]
	v_mul_f64_e32 v[24:25], s[12:13], v[8:9]
	v_add_f64_e32 v[8:9], v[82:83], v[92:93]
	v_add_f64_e32 v[34:35], v[10:11], v[58:59]
	v_mul_f64_e32 v[36:37], s[12:13], v[18:19]
	v_add_f64_e32 v[6:7], v[80:81], v[6:7]
	v_add_f64_e32 v[0:1], v[0:1], v[4:5]
	;; [unrolled: 1-line block ×3, first 2 shown]
	s_delay_alu instid0(VALU_DEP_3) | instskip(NEXT) | instid1(VALU_DEP_3)
	v_add_f64_e32 v[2:3], v[2:3], v[6:7]
	v_fma_f64 v[26:27], v[4:5], s[18:19], v[0:1]
	v_mul_f64_e32 v[4:5], s[8:9], v[20:21]
	s_delay_alu instid0(VALU_DEP_3) | instskip(SKIP_1) | instid1(VALU_DEP_3)
	v_fma_f64 v[28:29], v[6:7], s[18:19], v[2:3]
	v_mul_f64_e32 v[6:7], s[8:9], v[22:23]
	v_fma_f64 v[4:5], v[12:13], s[14:15], -v[4:5]
	s_delay_alu instid0(VALU_DEP_2) | instskip(NEXT) | instid1(VALU_DEP_2)
	v_fma_f64 v[6:7], v[14:15], s[14:15], -v[6:7]
	v_add_f64_e32 v[8:9], v[4:5], v[26:27]
	v_fma_f64 v[4:5], v[16:17], s[10:11], -v[24:25]
	v_fma_f64 v[24:25], v[42:43], s[16:17], v[24:25]
	v_mul_f64_e32 v[16:17], s[10:11], v[16:17]
	v_add_f64_e32 v[10:11], v[6:7], v[28:29]
	s_delay_alu instid0(VALU_DEP_4) | instskip(SKIP_3) | instid1(VALU_DEP_3)
	v_fma_f64 v[18:19], v[34:35], s[2:3], v[4:5]
	v_fma_f64 v[4:5], v[30:31], s[10:11], -v[36:37]
	v_fma_f64 v[24:25], v[34:35], s[2:3], v[24:25]
	v_fma_f64 v[16:17], v[42:43], s[24:25], -v[16:17]
	v_fma_f64 v[38:39], v[32:33], s[2:3], v[4:5]
	v_add_f64_e64 v[4:5], v[8:9], -v[18:19]
	v_add_f64_e32 v[8:9], v[8:9], v[18:19]
	v_add_f64_e64 v[18:19], v[52:53], -v[78:79]
	v_fma_f64 v[16:17], v[34:35], s[2:3], v[16:17]
	v_add_f64_e32 v[6:7], v[38:39], v[10:11]
	v_add_f64_e64 v[10:11], v[10:11], -v[38:39]
	v_add_f64_e64 v[38:39], v[54:55], -v[80:81]
	v_mul_f64_e32 v[44:45], s[20:21], v[18:19]
	v_mul_f64_e32 v[18:19], s[10:11], v[30:31]
	s_delay_alu instid0(VALU_DEP_3) | instskip(NEXT) | instid1(VALU_DEP_3)
	v_mul_f64_e32 v[38:39], s[20:21], v[38:39]
	v_fma_f64 v[12:13], v[12:13], s[22:23], -v[44:45]
	v_fma_f64 v[20:21], v[20:21], s[8:9], v[44:45]
	s_delay_alu instid0(VALU_DEP_4) | instskip(NEXT) | instid1(VALU_DEP_4)
	v_fma_f64 v[18:19], v[40:41], s[24:25], -v[18:19]
	v_fma_f64 v[14:15], v[14:15], s[22:23], -v[38:39]
	s_delay_alu instid0(VALU_DEP_4) | instskip(NEXT) | instid1(VALU_DEP_4)
	v_add_f64_e32 v[30:31], v[12:13], v[26:27]
	v_add_f64_e32 v[26:27], v[20:21], v[26:27]
	v_fma_f64 v[22:23], v[22:23], s[8:9], v[38:39]
	v_fma_f64 v[18:19], v[32:33], s[2:3], v[18:19]
	v_add_f64_e32 v[46:47], v[14:15], v[28:29]
	v_add_f64_e32 v[12:13], v[30:31], v[16:17]
	;; [unrolled: 1-line block ×3, first 2 shown]
	v_add_f64_e64 v[68:69], v[26:27], -v[24:25]
	scratch_load_b32 v24, off, off offset:1536 th:TH_LOAD_LU ; 4-byte Folded Reload
	v_add_f64_e64 v[16:17], v[30:31], -v[16:17]
	v_fma_f64 v[30:31], v[40:41], s[16:17], v[36:37]
	v_add_f64_e32 v[28:29], v[22:23], v[28:29]
	v_add_f64_e64 v[14:15], v[46:47], -v[18:19]
	v_add_f64_e32 v[18:19], v[18:19], v[46:47]
	s_delay_alu instid0(VALU_DEP_4) | instskip(NEXT) | instid1(VALU_DEP_1)
	v_fma_f64 v[30:31], v[32:33], s[2:3], v[30:31]
	v_add_f64_e64 v[22:23], v[28:29], -v[30:31]
	v_add_f64_e32 v[70:71], v[30:31], v[28:29]
	s_wait_loadcnt 0x0
	ds_store_b128 v24, v[0:3]
	ds_store_b128 v24, v[20:23] offset:16
	ds_store_b128 v24, v[12:15] offset:32
	;; [unrolled: 1-line block ×6, first 2 shown]
	global_wb scope:SCOPE_SE
	s_wait_dscnt 0x0
	s_barrier_signal -1
	s_barrier_wait -1
	global_inv scope:SCOPE_SE
	ds_load_b128 v[116:119], v252
	ds_load_b128 v[112:115], v252 offset:272
	ds_load_b128 v[132:135], v252 offset:560
	;; [unrolled: 1-line block ×33, first 2 shown]
	s_and_saveexec_b32 s2, vcc_lo
	s_cbranch_execz .LBB0_7
; %bb.6:
	scratch_load_b32 v12, off, off offset:4 ; 4-byte Folded Reload
	ds_load_b128 v[68:71], v252 offset:544
	s_wait_loadcnt 0x0
	ds_load_b128 v[72:75], v12 offset:1104
	s_wait_dscnt 0x0
	scratch_store_b128 off, v[72:75], off offset:64 ; 16-byte Folded Spill
	ds_load_b128 v[72:75], v12 offset:1664
	s_wait_dscnt 0x0
	scratch_store_b128 off, v[72:75], off offset:16 ; 16-byte Folded Spill
	;; [unrolled: 3-line block ×14, first 2 shown]
	ds_load_b128 v[72:75], v12 offset:8944
	ds_load_b128 v[12:15], v12 offset:9504
	s_wait_dscnt 0x1
	scratch_store_b128 off, v[72:75], off offset:32 ; 16-byte Folded Spill
	s_wait_dscnt 0x0
	scratch_store_b128 off, v[12:15], off offset:96 ; 16-byte Folded Spill
.LBB0_7:
	s_wait_alu 0xfffe
	s_or_b32 exec_lo, exec_lo, s2
	s_clause 0x7
	scratch_load_b128 v[72:75], off, off offset:1552 th:TH_LOAD_LU
	scratch_load_b128 v[168:171], off, off offset:1624 th:TH_LOAD_LU
	scratch_load_b128 v[92:95], off, off offset:1656 th:TH_LOAD_LU
	scratch_load_b128 v[164:167], off, off offset:1640 th:TH_LOAD_LU
	scratch_load_b128 v[98:101], off, off offset:1688 th:TH_LOAD_LU
	scratch_load_b128 v[108:111], off, off offset:1320 th:TH_LOAD_LU
	scratch_load_b128 v[178:181], off, off offset:1344 th:TH_LOAD_LU
	scratch_load_b128 v[160:163], off, off offset:1604 th:TH_LOAD_LU
	s_mov_b32 s30, 0x5d8e7cdc
	s_mov_b32 s2, 0x370991
	;; [unrolled: 1-line block ×34, first 2 shown]
	s_wait_alu 0xfffe
	s_mov_b32 s42, s30
	s_mov_b32 s18, s54
	;; [unrolled: 1-line block ×14, first 2 shown]
	s_clause 0x2
	scratch_load_b128 v[150:153], off, off offset:1720 th:TH_LOAD_LU
	scratch_load_b128 v[192:195], off, off offset:1456 th:TH_LOAD_LU
	;; [unrolled: 1-line block ×3, first 2 shown]
	s_wait_loadcnt_dscnt 0xa1f
	v_mul_f64_e32 v[12:13], v[74:75], v[134:135]
	s_wait_loadcnt_dscnt 0x518
	v_mul_f64_e32 v[253:254], v[110:111], v[248:249]
	s_delay_alu instid0(VALU_DEP_2) | instskip(SKIP_1) | instid1(VALU_DEP_1)
	v_fma_f64 v[142:143], v[72:73], v[132:133], v[12:13]
	v_mul_f64_e32 v[12:13], v[74:75], v[132:133]
	v_fma_f64 v[146:147], v[72:73], v[134:135], -v[12:13]
	scratch_load_b128 v[72:75], off, off offset:1784 th:TH_LOAD_LU ; 16-byte Folded Reload
	s_wait_loadcnt 0x0
	v_mul_f64_e32 v[12:13], v[74:75], v[130:131]
	s_delay_alu instid0(VALU_DEP_1) | instskip(SKIP_1) | instid1(VALU_DEP_1)
	v_fma_f64 v[140:141], v[72:73], v[128:129], v[12:13]
	v_mul_f64_e32 v[12:13], v[74:75], v[128:129]
	v_fma_f64 v[144:145], v[72:73], v[130:131], -v[12:13]
	scratch_load_b128 v[72:75], off, off offset:1800 th:TH_LOAD_LU ; 16-byte Folded Reload
	s_wait_loadcnt 0x0
	v_mul_f64_e32 v[12:13], v[74:75], v[18:19]
	s_delay_alu instid0(VALU_DEP_1)
	v_fma_f64 v[136:137], v[72:73], v[16:17], v[12:13]
	v_mul_f64_e32 v[12:13], v[74:75], v[16:17]
	scratch_load_b128 v[14:17], off, off offset:1816 th:TH_LOAD_LU ; 16-byte Folded Reload
	v_fma_f64 v[138:139], v[72:73], v[18:19], -v[12:13]
	s_wait_loadcnt 0x0
	v_mul_f64_e32 v[12:13], v[16:17], v[66:67]
	s_delay_alu instid0(VALU_DEP_1) | instskip(SKIP_1) | instid1(VALU_DEP_1)
	v_fma_f64 v[132:133], v[14:15], v[64:65], v[12:13]
	v_mul_f64_e32 v[12:13], v[16:17], v[64:65]
	v_fma_f64 v[134:135], v[14:15], v[66:67], -v[12:13]
	scratch_load_b128 v[14:17], off, off offset:1848 th:TH_LOAD_LU ; 16-byte Folded Reload
	s_wait_loadcnt_dscnt 0x17
	v_mul_f64_e32 v[12:13], v[16:17], v[62:63]
	s_delay_alu instid0(VALU_DEP_1)
	v_fma_f64 v[82:83], v[14:15], v[60:61], v[12:13]
	v_mul_f64_e32 v[12:13], v[16:17], v[60:61]
	scratch_load_b128 v[16:19], off, off offset:1832 th:TH_LOAD_LU ; 16-byte Folded Reload
	v_fma_f64 v[130:131], v[14:15], v[62:63], -v[12:13]
	scratch_load_b128 v[60:63], off, off offset:1736 th:TH_LOAD_LU ; 16-byte Folded Reload
	s_wait_loadcnt_dscnt 0x115
	v_mul_f64_e32 v[12:13], v[18:19], v[58:59]
	v_mul_f64_e32 v[14:15], v[18:19], v[56:57]
	s_delay_alu instid0(VALU_DEP_2) | instskip(NEXT) | instid1(VALU_DEP_2)
	v_fma_f64 v[88:89], v[16:17], v[56:57], v[12:13]
	v_fma_f64 v[90:91], v[16:17], v[58:59], -v[14:15]
	scratch_load_b128 v[56:59], off, off offset:1768 th:TH_LOAD_LU ; 16-byte Folded Reload
	s_wait_loadcnt_dscnt 0x111
	v_mul_f64_e32 v[16:17], v[62:63], v[50:51]
	v_mul_f64_e32 v[18:19], v[62:63], v[48:49]
	scratch_load_b128 v[62:65], off, off offset:1752 th:TH_LOAD_LU ; 16-byte Folded Reload
	v_fma_f64 v[76:77], v[60:61], v[50:51], -v[18:19]
	s_wait_dscnt 0x9
	v_mul_f64_e32 v[50:51], v[94:95], v[32:33]
	s_delay_alu instid0(VALU_DEP_1) | instskip(SKIP_3) | instid1(VALU_DEP_2)
	v_fma_f64 v[128:129], v[92:93], v[34:35], -v[50:51]
	s_wait_loadcnt 0x1
	v_mul_f64_e32 v[12:13], v[58:59], v[54:55]
	v_mul_f64_e32 v[14:15], v[58:59], v[52:53]
	v_fma_f64 v[86:87], v[56:57], v[52:53], v[12:13]
	s_delay_alu instid0(VALU_DEP_2)
	v_fma_f64 v[84:85], v[56:57], v[54:55], -v[14:15]
	scratch_load_b128 v[56:59], off, off offset:1704 th:TH_LOAD_LU ; 16-byte Folded Reload
	s_wait_loadcnt 0x1
	v_mul_f64_e32 v[52:53], v[64:65], v[42:43]
	v_mul_f64_e32 v[54:55], v[64:65], v[40:41]
	v_fma_f64 v[64:65], v[60:61], v[48:49], v[16:17]
	v_mul_f64_e32 v[48:49], v[94:95], v[34:35]
	scratch_load_b128 v[94:97], off, off offset:1672 th:TH_LOAD_LU ; 16-byte Folded Reload
	v_mul_f64_e32 v[16:17], v[100:101], v[38:39]
	v_mul_f64_e32 v[18:19], v[100:101], v[36:37]
	;; [unrolled: 1-line block ×3, first 2 shown]
	v_fma_f64 v[74:75], v[62:63], v[40:41], v[52:53]
	v_fma_f64 v[80:81], v[62:63], v[42:43], -v[54:55]
	scratch_load_b128 v[60:63], off, off offset:1584 th:TH_LOAD_LU ; 16-byte Folded Reload
	v_fma_f64 v[102:103], v[92:93], v[32:33], v[48:49]
	v_mul_f64_e32 v[48:49], v[110:111], v[250:251]
	v_fma_f64 v[72:73], v[98:99], v[36:37], v[16:17]
	v_fma_f64 v[100:101], v[98:99], v[38:39], -v[18:19]
	v_mul_f64_e32 v[32:33], v[170:171], v[2:3]
	v_mul_f64_e32 v[36:37], v[166:167], v[6:7]
	;; [unrolled: 1-line block ×3, first 2 shown]
	s_wait_dscnt 0x2
	v_mul_f64_e32 v[166:167], v[202:203], v[204:205]
	s_delay_alu instid0(VALU_DEP_3) | instskip(SKIP_3) | instid1(VALU_DEP_2)
	v_fma_f64 v[50:51], v[164:165], v[4:5], v[36:37]
	s_wait_loadcnt 0x2
	v_mul_f64_e32 v[12:13], v[58:59], v[46:47]
	v_mul_f64_e32 v[14:15], v[58:59], v[44:45]
	v_fma_f64 v[66:67], v[56:57], v[44:45], v[12:13]
	s_delay_alu instid0(VALU_DEP_2)
	v_fma_f64 v[78:79], v[56:57], v[46:47], -v[14:15]
	scratch_load_b128 v[56:59], off, off offset:1568 th:TH_LOAD_LU ; 16-byte Folded Reload
	s_wait_loadcnt 0x2
	v_mul_f64_e32 v[12:13], v[96:97], v[30:31]
	v_mul_f64_e32 v[14:15], v[96:97], v[28:29]
	s_wait_loadcnt 0x1
	v_mul_f64_e32 v[42:43], v[62:63], v[20:21]
	v_mul_f64_e32 v[40:41], v[62:63], v[22:23]
	;; [unrolled: 1-line block ×4, first 2 shown]
	v_fma_f64 v[104:105], v[94:95], v[28:29], v[12:13]
	v_fma_f64 v[106:107], v[94:95], v[30:31], -v[14:15]
	v_mul_f64_e32 v[30:31], v[180:181], v[246:247]
	v_mul_f64_e32 v[12:13], v[180:181], v[244:245]
	scratch_load_b128 v[180:183], off, off offset:1360 th:TH_LOAD_LU ; 16-byte Folded Reload
	v_fma_f64 v[98:99], v[60:61], v[22:23], -v[42:43]
	v_fma_f64 v[94:95], v[150:151], v[24:25], v[44:45]
	v_fma_f64 v[96:97], v[150:151], v[26:27], -v[46:47]
	v_fma_f64 v[92:93], v[60:61], v[20:21], v[40:41]
	v_add_f64_e32 v[20:21], v[116:117], v[142:143]
	v_add_f64_e32 v[26:27], v[118:119], v[146:147]
	v_fma_f64 v[28:29], v[168:169], v[2:3], -v[34:35]
	v_fma_f64 v[42:43], v[108:109], v[248:249], v[48:49]
	v_fma_f64 v[46:47], v[108:109], v[250:251], -v[253:254]
	v_fma_f64 v[36:37], v[178:179], v[244:245], v[30:31]
	v_add_f64_e32 v[2:3], v[26:27], v[144:145]
	s_delay_alu instid0(VALU_DEP_1)
	v_add_f64_e32 v[176:177], v[2:3], v[138:139]
	s_wait_loadcnt_dscnt 0x101
	v_mul_f64_e32 v[52:53], v[58:59], v[10:11]
	v_mul_f64_e32 v[54:55], v[58:59], v[8:9]
	scratch_load_b128 v[58:61], off, off offset:1520 th:TH_LOAD_LU ; 16-byte Folded Reload
	v_mul_f64_e32 v[16:17], v[162:163], v[122:123]
	v_mul_f64_e32 v[18:19], v[162:163], v[120:121]
	v_fma_f64 v[22:23], v[56:57], v[8:9], v[52:53]
	v_fma_f64 v[14:15], v[56:57], v[10:11], -v[54:55]
	scratch_load_b128 v[8:11], off, off offset:1424 th:TH_LOAD_LU ; 16-byte Folded Reload
	v_mul_f64_e32 v[52:53], v[194:195], v[226:227]
	v_mul_f64_e32 v[54:55], v[194:195], v[224:225]
	s_wait_loadcnt 0x2
	v_mul_f64_e32 v[62:63], v[182:183], v[242:243]
	v_mul_f64_e32 v[148:149], v[182:183], v[240:241]
	s_clause 0x1
	scratch_load_b128 v[182:185], off, off offset:1376 th:TH_LOAD_LU
	scratch_load_b128 v[194:197], off, off offset:1472 th:TH_LOAD_LU
	v_fma_f64 v[110:111], v[160:161], v[120:121], v[16:17]
	v_fma_f64 v[18:19], v[160:161], v[122:123], -v[18:19]
	v_fma_f64 v[16:17], v[168:169], v[0:1], v[32:33]
	v_add_f64_e32 v[0:1], v[20:21], v[140:141]
	v_fma_f64 v[56:57], v[164:165], v[6:7], -v[38:39]
	v_mul_f64_e32 v[164:165], v[202:203], v[206:207]
	v_fma_f64 v[38:39], v[178:179], v[246:247], -v[12:13]
	v_add_f64_e64 v[172:173], v[146:147], -v[14:15]
	v_add_f64_e32 v[146:147], v[146:147], v[14:15]
	v_fma_f64 v[12:13], v[180:181], v[240:241], v[62:63]
	v_fma_f64 v[32:33], v[180:181], v[242:243], -v[148:149]
	v_add_f64_e64 v[148:149], v[144:145], -v[98:99]
	v_add_f64_e32 v[144:145], v[144:145], v[98:99]
	v_fma_f64 v[62:63], v[200:201], v[206:207], -v[166:167]
	v_add_f64_e32 v[174:175], v[0:1], v[136:137]
	v_mul_f64_e32 v[166:167], s[34:35], v[146:147]
	v_mul_f64_e32 v[178:179], s[10:11], v[146:147]
	;; [unrolled: 1-line block ×3, first 2 shown]
	s_wait_alu 0xfffe
	v_mul_f64_e32 v[202:203], s[44:45], v[148:149]
	v_mul_f64_e32 v[246:247], s[50:51], v[148:149]
	;; [unrolled: 1-line block ×3, first 2 shown]
	s_wait_loadcnt 0x3
	v_mul_f64_e32 v[4:5], v[60:61], v[210:211]
	v_mul_f64_e32 v[6:7], v[60:61], v[208:209]
	v_fma_f64 v[60:61], v[200:201], v[204:205], v[164:165]
	v_mul_f64_e32 v[164:165], s[24:25], v[146:147]
	v_mul_f64_e32 v[200:201], s[10:11], v[144:145]
	v_mul_f64_e32 v[204:205], s[34:35], v[144:145]
	s_wait_loadcnt 0x2
	v_mul_f64_e32 v[156:157], v[10:11], v[222:223]
	v_mul_f64_e32 v[158:159], v[10:11], v[220:221]
	s_wait_loadcnt 0x1
	v_mul_f64_e32 v[24:25], v[184:185], v[238:239]
	v_mul_f64_e32 v[44:45], v[184:185], v[236:237]
	scratch_load_b128 v[184:187], off, off offset:1392 th:TH_LOAD_LU ; 16-byte Folded Reload
	s_wait_loadcnt 0x1
	v_mul_f64_e32 v[160:161], v[196:197], v[214:215]
	v_mul_f64_e32 v[162:163], v[196:197], v[212:213]
	scratch_load_b128 v[196:199], off, off offset:1488 th:TH_LOAD_LU ; 16-byte Folded Reload
	v_fma_f64 v[34:35], v[8:9], v[222:223], -v[158:159]
	v_mul_f64_e32 v[158:159], s[8:9], v[146:147]
	v_fma_f64 v[24:25], v[182:183], v[236:237], v[24:25]
	v_fma_f64 v[20:21], v[182:183], v[238:239], -v[44:45]
	v_add_f64_e64 v[182:183], v[138:139], -v[96:97]
	v_fma_f64 v[48:49], v[194:195], v[212:213], v[160:161]
	v_add_f64_e32 v[160:161], v[140:141], v[92:93]
	v_add_f64_e64 v[140:141], v[140:141], -v[92:93]
	s_delay_alu instid0(VALU_DEP_4)
	v_mul_f64_e32 v[108:109], s[18:19], v[182:183]
	s_wait_loadcnt 0x1
	v_mul_f64_e32 v[40:41], v[186:187], v[234:235]
	v_mul_f64_e32 v[150:151], v[186:187], v[232:233]
	scratch_load_b128 v[186:189], off, off offset:1408 th:TH_LOAD_LU ; 16-byte Folded Reload
	s_wait_loadcnt_dscnt 0x100
	v_mul_f64_e32 v[168:169], v[198:199], v[126:127]
	v_mul_f64_e32 v[170:171], v[198:199], v[124:125]
	;; [unrolled: 1-line block ×3, first 2 shown]
	v_fma_f64 v[30:31], v[184:185], v[232:233], v[40:41]
	v_fma_f64 v[26:27], v[184:185], v[234:235], -v[150:151]
	v_mul_f64_e32 v[150:151], s[2:3], v[146:147]
	v_mul_f64_e32 v[184:185], s[8:9], v[144:145]
	s_wait_loadcnt 0x0
	v_mul_f64_e32 v[152:153], v[188:189], v[230:231]
	v_mul_f64_e32 v[154:155], v[188:189], v[228:229]
	scratch_load_b128 v[188:191], off, off offset:1440 th:TH_LOAD_LU ; 16-byte Folded Reload
	v_fma_f64 v[0:1], v[186:187], v[228:229], v[152:153]
	v_mul_f64_e32 v[152:153], s[54:55], v[172:173]
	scratch_store_b64 off, v[0:1], off offset:1392 ; 8-byte Folded Spill
	v_fma_f64 v[0:1], v[186:187], v[230:231], -v[154:155]
	v_add_f64_e32 v[154:155], v[174:175], v[132:133]
	v_add_f64_e32 v[174:175], v[138:139], v[96:97]
	v_mul_f64_e32 v[138:139], s[52:53], v[172:173]
	v_mul_f64_e32 v[186:187], s[26:27], v[148:149]
	scratch_store_b64 off, v[0:1], off offset:1408 ; 8-byte Folded Spill
	v_fma_f64 v[0:1], v[192:193], v[224:225], v[52:53]
	v_add_f64_e32 v[154:155], v[154:155], v[82:83]
	v_fma_f64 v[52:53], v[194:195], v[214:215], -v[162:163]
	v_mul_f64_e32 v[162:163], s[26:27], v[172:173]
	v_mul_f64_e32 v[194:195], s[40:41], v[148:149]
	v_fma_f64 v[238:239], v[160:161], s[24:25], v[186:187]
	v_fma_f64 v[186:187], v[160:161], s[24:25], -v[186:187]
	scratch_store_b64 off, v[0:1], off offset:1360 ; 8-byte Folded Spill
	v_fma_f64 v[0:1], v[192:193], v[226:227], -v[54:55]
	v_fma_f64 v[54:55], v[58:59], v[208:209], v[4:5]
	v_fma_f64 v[58:59], v[58:59], v[210:211], -v[6:7]
	v_add_f64_e32 v[154:155], v[154:155], v[88:89]
	v_mul_f64_e32 v[192:193], s[14:15], v[144:145]
	scratch_store_b64 off, v[0:1], off offset:1376 ; 8-byte Folded Spill
	v_fma_f64 v[0:1], v[8:9], v[220:221], v[156:157]
	v_add_f64_e32 v[156:157], v[176:177], v[134:135]
	v_mul_f64_e32 v[176:177], s[22:23], v[172:173]
	v_fma_f64 v[244:245], v[140:141], s[28:29], v[192:193]
	scratch_store_b64 off, v[0:1], off offset:1344 ; 8-byte Folded Spill
	v_fma_f64 v[0:1], v[196:197], v[124:125], v[168:169]
	v_add_f64_e32 v[156:157], v[156:157], v[130:131]
	v_mul_f64_e32 v[124:125], s[36:37], v[172:173]
	v_mul_f64_e32 v[168:169], s[20:21], v[172:173]
	scratch_store_b64 off, v[0:1], off offset:1336 ; 8-byte Folded Spill
	v_fma_f64 v[0:1], v[196:197], v[126:127], -v[170:171]
	v_mul_f64_e32 v[126:127], s[16:17], v[146:147]
	v_mul_f64_e32 v[170:171], s[14:15], v[146:147]
	;; [unrolled: 1-line block ×3, first 2 shown]
	v_add_f64_e32 v[156:157], v[156:157], v[90:91]
	v_mul_f64_e32 v[196:197], s[12:13], v[144:145]
	s_clause 0x1
	scratch_store_b64 off, v[12:13], off offset:1536
	scratch_store_b64 off, v[0:1], off offset:8
	s_wait_loadcnt 0x0
	v_mul_f64_e32 v[120:121], v[190:191], v[218:219]
	v_mul_f64_e32 v[122:123], v[190:191], v[216:217]
	v_mul_f64_e32 v[190:191], s[20:21], v[148:149]
	v_mul_f64_e32 v[148:149], s[42:43], v[148:149]
	s_delay_alu instid0(VALU_DEP_4) | instskip(NEXT) | instid1(VALU_DEP_4)
	v_fma_f64 v[40:41], v[188:189], v[216:217], v[120:121]
	v_fma_f64 v[44:45], v[188:189], v[218:219], -v[122:123]
	v_add_f64_e32 v[120:121], v[142:143], v[22:23]
	v_add_f64_e64 v[122:123], v[142:143], -v[22:23]
	v_mul_f64_e32 v[142:143], s[30:31], v[172:173]
	v_mul_f64_e32 v[172:173], s[40:41], v[172:173]
	;; [unrolled: 1-line block ×3, first 2 shown]
	v_fma_f64 v[242:243], v[160:161], s[14:15], v[190:191]
	v_mul_f64_e32 v[144:145], s[2:3], v[144:145]
	v_fma_f64 v[210:211], v[120:121], s[8:9], v[152:153]
	v_fma_f64 v[208:209], v[122:123], s[42:43], v[150:151]
	;; [unrolled: 1-line block ×3, first 2 shown]
	v_fma_f64 v[142:143], v[120:121], s[2:3], -v[142:143]
	v_fma_f64 v[150:151], v[122:123], s[30:31], v[150:151]
	v_fma_f64 v[212:213], v[122:123], s[18:19], v[158:159]
	v_fma_f64 v[152:153], v[120:121], s[8:9], -v[152:153]
	v_fma_f64 v[158:159], v[122:123], s[54:55], v[158:159]
	v_fma_f64 v[222:223], v[120:121], s[34:35], v[138:139]
	v_fma_f64 v[138:139], v[120:121], s[34:35], -v[138:139]
	v_fma_f64 v[214:215], v[120:121], s[16:17], v[124:125]
	v_fma_f64 v[216:217], v[122:123], s[50:51], v[126:127]
	v_fma_f64 v[124:125], v[120:121], s[16:17], -v[124:125]
	v_fma_f64 v[126:127], v[122:123], s[36:37], v[126:127]
	v_fma_f64 v[218:219], v[120:121], s[24:25], v[162:163]
	v_fma_f64 v[220:221], v[122:123], s[38:39], v[164:165]
	v_fma_f64 v[162:163], v[120:121], s[24:25], -v[162:163]
	v_fma_f64 v[164:165], v[122:123], s[26:27], v[164:165]
	v_fma_f64 v[224:225], v[122:123], s[44:45], v[166:167]
	v_fma_f64 v[166:167], v[122:123], s[52:53], v[166:167]
	v_fma_f64 v[226:227], v[120:121], s[14:15], v[168:169]
	v_fma_f64 v[228:229], v[122:123], s[28:29], v[170:171]
	v_fma_f64 v[168:169], v[120:121], s[14:15], -v[168:169]
	v_fma_f64 v[170:171], v[122:123], s[20:21], v[170:171]
	v_fma_f64 v[230:231], v[120:121], s[10:11], v[176:177]
	v_fma_f64 v[232:233], v[122:123], s[48:49], v[178:179]
	v_fma_f64 v[176:177], v[120:121], s[10:11], -v[176:177]
	v_fma_f64 v[178:179], v[122:123], s[22:23], v[178:179]
	v_fma_f64 v[234:235], v[120:121], s[12:13], v[172:173]
	v_fma_f64 v[236:237], v[122:123], s[46:47], v[146:147]
	;; [unrolled: 4-line block ×4, first 2 shown]
	v_add_f64_e32 v[210:211], v[116:117], v[210:211]
	v_add_f64_e32 v[208:209], v[118:119], v[208:209]
	;; [unrolled: 1-line block ×16, first 2 shown]
	v_fma_f64 v[156:157], v[160:161], s[12:13], -v[194:195]
	v_add_f64_e32 v[124:125], v[116:117], v[124:125]
	v_add_f64_e32 v[224:225], v[118:119], v[224:225]
	;; [unrolled: 1-line block ×7, first 2 shown]
	v_fma_f64 v[168:169], v[160:161], s[10:11], v[198:199]
	v_fma_f64 v[170:171], v[140:141], s[22:23], v[200:201]
	v_add_f64_e32 v[166:167], v[118:119], v[166:167]
	v_add_f64_e32 v[226:227], v[116:117], v[226:227]
	;; [unrolled: 1-line block ×11, first 2 shown]
	v_mul_f64_e32 v[178:179], s[16:17], v[174:175]
	v_add_f64_e32 v[210:211], v[238:239], v[210:211]
	v_add_f64_e32 v[208:209], v[172:173], v[208:209]
	;; [unrolled: 1-line block ×8, first 2 shown]
	v_fma_f64 v[142:143], v[160:161], s[14:15], -v[190:191]
	v_fma_f64 v[146:147], v[140:141], s[20:21], v[192:193]
	v_fma_f64 v[150:151], v[160:161], s[12:13], v[194:195]
	;; [unrolled: 1-line block ×4, first 2 shown]
	v_fma_f64 v[184:185], v[160:161], s[10:11], -v[198:199]
	v_fma_f64 v[186:187], v[140:141], s[48:49], v[200:201]
	v_fma_f64 v[188:189], v[160:161], s[34:35], v[202:203]
	;; [unrolled: 1-line block ×3, first 2 shown]
	v_fma_f64 v[192:193], v[160:161], s[34:35], -v[202:203]
	v_fma_f64 v[194:195], v[140:141], s[44:45], v[204:205]
	v_fma_f64 v[196:197], v[160:161], s[16:17], v[246:247]
	v_fma_f64 v[200:201], v[160:161], s[16:17], -v[246:247]
	v_add_f64_e32 v[246:247], v[136:137], v[94:95]
	v_fma_f64 v[204:205], v[160:161], s[2:3], v[148:149]
	v_fma_f64 v[148:149], v[160:161], s[2:3], -v[148:149]
	v_mul_f64_e32 v[160:161], s[20:21], v[182:183]
	v_add_f64_e32 v[154:155], v[154:155], v[76:77]
	v_add_f64_e32 v[118:119], v[242:243], v[214:215]
	;; [unrolled: 1-line block ×3, first 2 shown]
	v_fma_f64 v[198:199], v[140:141], s[36:37], v[248:249]
	v_fma_f64 v[202:203], v[140:141], s[50:51], v[248:249]
	v_mul_f64_e32 v[172:173], s[36:37], v[182:183]
	v_add_f64_e64 v[248:249], v[136:137], -v[94:95]
	v_fma_f64 v[214:215], v[140:141], s[30:31], v[144:145]
	v_fma_f64 v[216:217], v[140:141], s[42:43], v[144:145]
	v_mul_f64_e32 v[144:145], s[14:15], v[174:175]
	v_add_f64_e32 v[242:243], v[138:139], v[64:65]
	v_mul_f64_e32 v[244:245], s[46:47], v[182:183]
	v_add_f64_e32 v[140:141], v[142:143], v[124:125]
	v_add_f64_e32 v[136:137], v[146:147], v[126:127]
	v_mul_f64_e32 v[124:125], s[12:13], v[174:175]
	v_add_f64_e32 v[176:177], v[152:153], v[220:221]
	v_add_f64_e32 v[138:139], v[150:151], v[218:219]
	;; [unrolled: 1-line block ×4, first 2 shown]
	v_mul_f64_e32 v[186:187], s[8:9], v[174:175]
	v_add_f64_e32 v[166:167], v[188:189], v[226:227]
	v_mul_f64_e32 v[226:227], s[2:3], v[174:175]
	v_mul_f64_e32 v[188:189], s[30:31], v[182:183]
	v_add_f64_e32 v[158:159], v[196:197], v[230:231]
	v_add_f64_e32 v[148:149], v[148:149], v[120:121]
	v_fma_f64 v[146:147], v[246:247], s[14:15], v[160:161]
	v_fma_f64 v[152:153], v[246:247], s[14:15], -v[160:161]
	v_add_f64_e32 v[160:161], v[170:171], v[224:225]
	v_add_f64_e32 v[170:171], v[192:193], v[0:1]
	v_add_f64_e32 v[192:193], v[154:155], v[78:79]
	v_mul_f64_e32 v[224:225], s[34:35], v[174:175]
	v_fma_f64 v[126:127], v[246:247], s[16:17], v[172:173]
	v_fma_f64 v[218:219], v[248:249], s[50:51], v[178:179]
	v_fma_f64 v[220:221], v[246:247], s[16:17], -v[172:173]
	v_fma_f64 v[142:143], v[248:249], s[36:37], v[178:179]
	v_add_f64_e32 v[178:179], v[156:157], v[162:163]
	v_fma_f64 v[150:151], v[248:249], s[28:29], v[144:145]
	v_add_f64_e32 v[172:173], v[168:169], v[222:223]
	v_add_f64_e32 v[168:169], v[190:191], v[228:229]
	v_mul_f64_e32 v[0:1], s[26:27], v[182:183]
	v_add_f64_e32 v[156:157], v[194:195], v[2:3]
	v_mul_f64_e32 v[194:195], s[24:25], v[174:175]
	v_add_f64_e32 v[190:191], v[242:243], v[66:67]
	v_add_f64_e32 v[2:3], v[202:203], v[6:7]
	v_mul_f64_e32 v[202:203], s[10:11], v[174:175]
	v_add_f64_e64 v[174:175], v[134:135], -v[106:107]
	v_add_f64_e32 v[6:7], v[216:217], v[122:123]
	v_fma_f64 v[253:254], v[248:249], s[20:21], v[144:145]
	v_mul_f64_e32 v[222:223], s[44:45], v[182:183]
	v_add_f64_e32 v[162:163], v[184:185], v[250:251]
	v_add_f64_e32 v[144:145], v[204:205], v[234:235]
	;; [unrolled: 1-line block ×5, first 2 shown]
	v_mul_f64_e32 v[200:201], s[22:23], v[182:183]
	v_add_f64_e32 v[4:5], v[214:215], v[236:237]
	v_fma_f64 v[236:237], v[246:247], s[12:13], -v[244:245]
	v_add_f64_e32 v[242:243], v[112:113], v[110:111]
	v_fma_f64 v[234:235], v[248:249], s[46:47], v[124:125]
	v_fma_f64 v[216:217], v[246:247], s[2:3], v[188:189]
	;; [unrolled: 1-line block ×3, first 2 shown]
	v_add_f64_e32 v[122:123], v[152:153], v[238:239]
	v_fma_f64 v[238:239], v[248:249], s[40:41], v[124:125]
	v_add_f64_e32 v[152:153], v[192:193], v[80:81]
	v_fma_f64 v[230:231], v[248:249], s[52:53], v[224:225]
	v_fma_f64 v[124:125], v[248:249], s[44:45], v[224:225]
	v_add_f64_e32 v[184:185], v[218:219], v[208:209]
	v_add_f64_e32 v[8:9], v[220:221], v[8:9]
	;; [unrolled: 1-line block ×3, first 2 shown]
	v_fma_f64 v[224:225], v[246:247], s[8:9], v[108:109]
	v_add_f64_e32 v[142:143], v[150:151], v[212:213]
	v_fma_f64 v[220:221], v[246:247], s[8:9], -v[108:109]
	v_add_f64_e32 v[182:183], v[126:127], v[206:207]
	v_fma_f64 v[208:209], v[246:247], s[24:25], v[0:1]
	v_fma_f64 v[204:205], v[246:247], s[24:25], -v[0:1]
	v_add_f64_e32 v[0:1], v[132:133], v[104:105]
	v_add_f64_e32 v[150:151], v[190:191], v[74:75]
	;; [unrolled: 1-line block ×3, first 2 shown]
	v_fma_f64 v[218:219], v[248:249], s[18:19], v[186:187]
	v_mul_f64_e32 v[108:109], s[26:27], v[174:175]
	v_fma_f64 v[212:213], v[246:247], s[2:3], -v[188:189]
	v_add_f64_e32 v[120:121], v[253:254], v[240:241]
	v_fma_f64 v[240:241], v[246:247], s[12:13], v[244:245]
	v_fma_f64 v[232:233], v[246:247], s[34:35], v[222:223]
	v_fma_f64 v[228:229], v[246:247], s[34:35], -v[222:223]
	v_fma_f64 v[222:223], v[248:249], s[54:55], v[186:187]
	v_fma_f64 v[210:211], v[248:249], s[30:31], v[226:227]
	;; [unrolled: 1-line block ×3, first 2 shown]
	v_add_f64_e64 v[132:133], v[132:133], -v[104:105]
	v_mul_f64_e32 v[146:147], s[24:25], v[134:135]
	v_mul_f64_e32 v[186:187], s[40:41], v[174:175]
	;; [unrolled: 1-line block ×3, first 2 shown]
	v_add_f64_e32 v[190:191], v[130:131], v[128:129]
	v_add_f64_e64 v[130:131], v[130:131], -v[128:129]
	v_mul_f64_e32 v[192:193], s[44:45], v[174:175]
	v_fma_f64 v[194:195], v[248:249], s[26:27], v[194:195]
	v_fma_f64 v[196:197], v[246:247], s[10:11], v[200:201]
	;; [unrolled: 1-line block ×3, first 2 shown]
	v_fma_f64 v[200:201], v[246:247], s[10:11], -v[200:201]
	v_fma_f64 v[202:203], v[248:249], s[22:23], v[202:203]
	v_add_f64_e32 v[140:141], v[236:237], v[140:141]
	v_mul_f64_e32 v[226:227], s[34:35], v[134:135]
	v_add_f64_e32 v[244:245], v[114:115], v[18:19]
	v_dual_mov_b32 v248, v25 :: v_dual_mov_b32 v247, v24
	v_dual_mov_b32 v254, v21 :: v_dual_mov_b32 v253, v20
	v_add_f64_e32 v[152:153], v[152:153], v[100:101]
	v_add_f64_e32 v[124:125], v[124:125], v[180:181]
	;; [unrolled: 1-line block ×3, first 2 shown]
	v_mul_f64_e32 v[230:231], s[42:43], v[174:175]
	v_add_f64_e32 v[172:173], v[224:225], v[172:173]
	v_add_f64_e32 v[162:163], v[220:221], v[162:163]
	v_mul_f64_e32 v[220:221], s[16:17], v[134:135]
	v_add_f64_e32 v[150:151], v[150:151], v[72:73]
	v_add_f64_e32 v[166:167], v[216:217], v[166:167]
	;; [unrolled: 1-line block ×3, first 2 shown]
	v_fma_f64 v[180:181], v[0:1], s[24:25], v[108:109]
	v_fma_f64 v[108:109], v[0:1], s[24:25], -v[108:109]
	v_mul_f64_e32 v[218:219], s[22:23], v[174:175]
	v_add_f64_e32 v[118:119], v[240:241], v[118:119]
	v_mul_f64_e32 v[216:217], s[10:11], v[134:135]
	v_add_f64_e32 v[178:179], v[228:229], v[178:179]
	;; [unrolled: 2-line block ×4, first 2 shown]
	v_fma_f64 v[224:225], v[132:133], s[38:39], v[146:147]
	v_fma_f64 v[146:147], v[132:133], s[26:27], v[146:147]
	v_mul_f64_e32 v[214:215], s[28:29], v[174:175]
	v_add_f64_e32 v[170:171], v[212:213], v[170:171]
	v_mul_f64_e32 v[212:213], s[14:15], v[134:135]
	v_mul_f64_e32 v[134:135], s[8:9], v[134:135]
	v_add_f64_e32 v[156:157], v[210:211], v[156:157]
	v_fma_f64 v[210:211], v[0:1], s[12:13], v[186:187]
	v_add_f64_e32 v[158:159], v[208:209], v[158:159]
	v_fma_f64 v[208:209], v[132:133], s[46:47], v[188:189]
	v_fma_f64 v[188:189], v[132:133], s[40:41], v[188:189]
	v_add_f64_e32 v[154:155], v[206:207], v[154:155]
	v_fma_f64 v[206:207], v[0:1], s[34:35], v[192:193]
	v_fma_f64 v[192:193], v[0:1], s[34:35], -v[192:193]
	v_add_f64_e32 v[136:137], v[234:235], v[136:137]
	v_add_f64_e32 v[138:139], v[232:233], v[138:139]
	v_add_f64_e32 v[204:205], v[204:205], v[250:251]
	v_fma_f64 v[236:237], v[132:133], s[52:53], v[226:227]
	v_add_f64_e32 v[2:3], v[194:195], v[2:3]
	v_add_f64_e32 v[144:145], v[196:197], v[144:145]
	;; [unrolled: 1-line block ×6, first 2 shown]
	s_clause 0x2
	scratch_load_b64 v[245:246], off, off offset:1408 th:TH_LOAD_LU
	scratch_load_b64 v[20:21], off, off offset:1376 th:TH_LOAD_LU
	;; [unrolled: 1-line block ×3, first 2 shown]
	v_add_f64_e32 v[116:117], v[238:239], v[116:117]
	v_mul_f64_e32 v[174:175], s[18:19], v[174:175]
	v_fma_f64 v[186:187], v[0:1], s[12:13], -v[186:187]
	v_add_f64_e32 v[232:233], v[242:243], v[50:51]
	scratch_load_b64 v[243:244], off, off offset:1392 th:TH_LOAD_LU ; 8-byte Folded Reload
	v_dual_mov_b32 v242, v31 :: v_dual_mov_b32 v241, v30
	v_add_nc_u32_e32 v251, 0x220, v252
	v_add_f64_e32 v[128:129], v[152:153], v[128:129]
	v_add_f64_e32 v[8:9], v[108:109], v[8:9]
	;; [unrolled: 1-line block ×6, first 2 shown]
	v_fma_f64 v[146:147], v[132:133], s[44:45], v[226:227]
	v_fma_f64 v[150:151], v[0:1], s[2:3], v[230:231]
	v_fma_f64 v[152:153], v[132:133], s[30:31], v[228:229]
	v_fma_f64 v[184:185], v[0:1], s[2:3], -v[230:231]
	v_fma_f64 v[194:195], v[132:133], s[42:43], v[228:229]
	v_fma_f64 v[196:197], v[0:1], s[16:17], v[222:223]
	v_fma_f64 v[198:199], v[132:133], s[50:51], v[220:221]
	v_fma_f64 v[200:201], v[0:1], s[16:17], -v[222:223]
	;; [unrolled: 4-line block ×4, first 2 shown]
	v_fma_f64 v[212:213], v[132:133], s[28:29], v[212:213]
	v_fma_f64 v[230:231], v[132:133], s[54:55], v[134:135]
	v_fma_f64 v[132:133], v[132:133], s[18:19], v[134:135]
	v_add_f64_e32 v[134:135], v[82:83], v[102:103]
	v_add_f64_e64 v[82:83], v[82:83], -v[102:103]
	v_add_f64_e32 v[126:127], v[210:211], v[126:127]
	v_mul_f64_e32 v[210:211], s[48:49], v[130:131]
	v_add_f64_e32 v[142:143], v[208:209], v[142:143]
	v_mul_f64_e32 v[208:209], s[10:11], v[190:191]
	;; [unrolled: 2-line block ×5, first 2 shown]
	v_fma_f64 v[228:229], v[0:1], s[8:9], v[174:175]
	v_fma_f64 v[0:1], v[0:1], s[8:9], -v[174:175]
	v_mul_f64_e32 v[102:103], s[52:53], v[130:131]
	v_add_f64_e32 v[174:175], v[90:91], v[100:101]
	v_add_f64_e64 v[90:91], v[90:91], -v[100:101]
	v_mul_f64_e32 v[100:101], s[34:35], v[190:191]
	v_add_f64_e32 v[122:123], v[186:187], v[122:123]
	v_mul_f64_e32 v[186:187], s[18:19], v[130:131]
	v_add_f64_e32 v[116:117], v[236:237], v[116:117]
	v_mul_f64_e32 v[236:237], s[12:13], v[190:191]
	v_add_f64_e32 v[232:233], v[232:233], v[16:17]
	v_add_f64_e32 v[234:235], v[234:235], v[28:29]
	v_add_f64_e32 v[106:107], v[128:129], v[106:107]
	;; [unrolled: 1-line block ×3, first 2 shown]
	v_mul_f64_e32 v[108:109], s[8:9], v[190:191]
	v_mul_f64_e32 v[128:129], s[36:37], v[130:131]
	v_add_f64_e32 v[136:137], v[146:147], v[136:137]
	v_add_f64_e32 v[138:139], v[150:151], v[138:139]
	;; [unrolled: 1-line block ×10, first 2 shown]
	v_mul_f64_e32 v[146:147], s[24:25], v[190:191]
	v_mul_f64_e32 v[150:151], s[30:31], v[130:131]
	;; [unrolled: 1-line block ×3, first 2 shown]
	v_fma_f64 v[198:199], v[134:135], s[10:11], -v[210:211]
	v_mul_f64_e32 v[130:131], s[20:21], v[130:131]
	v_fma_f64 v[200:201], v[82:83], s[48:49], v[208:209]
	v_mul_f64_e32 v[190:191], s[14:15], v[190:191]
	v_add_f64_e32 v[178:179], v[184:185], v[178:179]
	v_add_f64_e32 v[124:125], v[194:195], v[124:125]
	v_fma_f64 v[212:213], v[134:135], s[12:13], v[206:207]
	v_fma_f64 v[206:207], v[134:135], s[12:13], -v[206:207]
	v_fma_f64 v[218:219], v[134:135], s[24:25], v[192:193]
	v_add_f64_e32 v[164:165], v[202:203], v[164:165]
	v_add_f64_e32 v[168:169], v[222:223], v[168:169]
	v_fma_f64 v[184:185], v[134:135], s[34:35], v[102:103]
	v_fma_f64 v[102:103], v[134:135], s[34:35], -v[102:103]
	v_add_f64_e32 v[156:157], v[216:217], v[156:157]
	v_fma_f64 v[194:195], v[82:83], s[44:45], v[100:101]
	v_add_f64_e32 v[158:159], v[224:225], v[158:159]
	v_add_f64_e32 v[154:155], v[226:227], v[154:155]
	v_fma_f64 v[100:101], v[82:83], s[52:53], v[100:101]
	v_fma_f64 v[202:203], v[134:135], s[8:9], v[186:187]
	v_fma_f64 v[186:187], v[134:135], s[8:9], -v[186:187]
	v_fma_f64 v[214:215], v[82:83], s[46:47], v[236:237]
	v_fma_f64 v[216:217], v[82:83], s[40:41], v[236:237]
	v_fma_f64 v[192:193], v[134:135], s[24:25], -v[192:193]
	v_add_f64_e32 v[144:145], v[228:229], v[144:145]
	v_mul_f64_e32 v[228:229], s[30:31], v[90:91]
	v_add_f64_e32 v[4:5], v[230:231], v[4:5]
	v_mul_f64_e32 v[230:231], s[2:3], v[174:175]
	;; [unrolled: 2-line block ×4, first 2 shown]
	v_add_f64_e32 v[232:233], v[232:233], v[42:43]
	v_add_f64_e32 v[234:235], v[234:235], v[46:47]
	;; [unrolled: 1-line block ×4, first 2 shown]
	v_fma_f64 v[104:105], v[134:135], s[10:11], v[210:211]
	v_fma_f64 v[106:107], v[82:83], s[22:23], v[208:209]
	;; [unrolled: 1-line block ×6, first 2 shown]
	v_fma_f64 v[128:129], v[134:135], s[16:17], -v[128:129]
	v_fma_f64 v[188:189], v[82:83], s[36:37], v[188:189]
	v_fma_f64 v[220:221], v[82:83], s[26:27], v[146:147]
	;; [unrolled: 1-line block ×5, first 2 shown]
	v_fma_f64 v[150:151], v[134:135], s[2:3], -v[150:151]
	v_fma_f64 v[176:177], v[82:83], s[30:31], v[176:177]
	v_fma_f64 v[226:227], v[134:135], s[14:15], v[130:131]
	;; [unrolled: 1-line block ×3, first 2 shown]
	v_fma_f64 v[130:131], v[134:135], s[14:15], -v[130:131]
	v_fma_f64 v[82:83], v[82:83], s[20:21], v[190:191]
	v_add_f64_e32 v[134:135], v[88:89], v[72:73]
	v_mul_f64_e32 v[190:191], s[20:21], v[90:91]
	v_add_f64_e64 v[72:73], v[88:89], -v[72:73]
	v_mul_f64_e32 v[88:89], s[14:15], v[174:175]
	v_add_f64_e32 v[180:181], v[184:185], v[180:181]
	v_add_f64_e32 v[182:183], v[194:195], v[182:183]
	v_mul_f64_e32 v[194:195], s[24:25], v[174:175]
	v_add_f64_e32 v[8:9], v[102:103], v[8:9]
	v_mul_f64_e32 v[184:185], s[38:39], v[90:91]
	v_add_f64_e32 v[10:11], v[100:101], v[10:11]
	v_add_f64_e32 v[122:123], v[198:199], v[122:123]
	;; [unrolled: 1-line block ×8, first 2 shown]
	v_mul_f64_e32 v[94:95], s[44:45], v[90:91]
	v_mul_f64_e32 v[98:99], s[34:35], v[174:175]
	v_add_f64_e32 v[106:107], v[106:107], v[142:143]
	v_add_f64_e32 v[108:109], v[108:109], v[136:137]
	;; [unrolled: 1-line block ×14, first 2 shown]
	v_add_f64_e64 v[158:159], v[84:85], -v[80:81]
	v_add_f64_e32 v[80:81], v[84:85], v[80:81]
	v_mul_f64_e32 v[84:85], s[54:55], v[90:91]
	v_fma_f64 v[102:103], v[134:135], s[14:15], v[190:191]
	v_mul_f64_e32 v[172:173], s[40:41], v[90:91]
	v_fma_f64 v[100:101], v[72:73], s[28:29], v[88:89]
	v_fma_f64 v[88:89], v[72:73], s[20:21], v[88:89]
	v_mul_f64_e32 v[186:187], s[12:13], v[174:175]
	v_fma_f64 v[188:189], v[134:135], s[2:3], -v[228:229]
	v_fma_f64 v[198:199], v[134:135], s[10:11], v[148:149]
	v_add_f64_e32 v[0:1], v[130:131], v[0:1]
	v_add_f64_e32 v[6:7], v[82:83], v[6:7]
	v_fma_f64 v[130:131], v[72:73], s[22:23], v[132:133]
	v_add_f64_e32 v[128:129], v[128:129], v[178:179]
	v_add_f64_e32 v[154:155], v[224:225], v[154:155]
	;; [unrolled: 1-line block ×4, first 2 shown]
	v_fma_f64 v[176:177], v[134:135], s[2:3], v[228:229]
	v_add_f64_e32 v[4:5], v[236:237], v[4:5]
	v_fma_f64 v[200:201], v[72:73], s[48:49], v[132:133]
	v_fma_f64 v[132:133], v[134:135], s[24:25], v[184:185]
	v_mul_f64_e32 v[90:91], s[50:51], v[90:91]
	v_fma_f64 v[178:179], v[72:73], s[42:43], v[230:231]
	v_add_f64_e32 v[232:233], v[232:233], v[12:13]
	v_add_f64_e32 v[234:235], v[234:235], v[32:33]
	v_dual_mov_b32 v12, v26 :: v_dual_mov_b32 v13, v27
	v_add_f64_e32 v[116:117], v[204:205], v[116:117]
	v_add_f64_e32 v[144:145], v[226:227], v[144:145]
	v_add_f64_e64 v[224:225], v[28:29], -v[58:59]
	v_add_f64_e32 v[28:29], v[28:29], v[58:59]
	v_add_f64_e32 v[166:167], v[96:97], v[14:15]
	scratch_load_b64 v[14:15], off, off offset:8 ; 8-byte Folded Reload
	v_add_f64_e32 v[164:165], v[92:93], v[22:23]
	v_fma_f64 v[92:93], v[134:135], s[14:15], -v[190:191]
	scratch_store_b64 off, v[16:17], off offset:1544 ; 8-byte Folded Spill
	v_add_f64_e32 v[96:97], v[220:221], v[168:169]
	v_fma_f64 v[168:169], v[134:135], s[34:35], v[94:95]
	v_fma_f64 v[94:95], v[134:135], s[34:35], -v[94:95]
	v_fma_f64 v[190:191], v[72:73], s[30:31], v[230:231]
	v_add_nc_u32_e32 v231, 0x550, v252
	v_add_f64_e32 v[82:83], v[102:103], v[180:181]
	v_fma_f64 v[102:103], v[134:135], s[10:11], -v[148:149]
	v_fma_f64 v[148:149], v[72:73], s[26:27], v[194:195]
	v_add_f64_e32 v[100:101], v[100:101], v[182:183]
	v_add_f64_e32 v[10:11], v[88:89], v[10:11]
	v_fma_f64 v[88:89], v[134:135], s[24:25], -v[184:185]
	v_add_f64_e32 v[180:181], v[86:87], v[74:75]
	v_add_f64_e64 v[74:75], v[86:87], -v[74:75]
	v_mul_f64_e32 v[86:87], s[22:23], v[158:159]
	v_mul_f64_e32 v[182:183], s[10:11], v[80:81]
	v_fma_f64 v[184:185], v[134:135], s[8:9], v[84:85]
	v_fma_f64 v[84:85], v[134:135], s[8:9], -v[84:85]
	v_add_f64_e32 v[126:127], v[188:189], v[126:127]
	v_mul_f64_e32 v[188:189], s[26:27], v[158:159]
	v_add_f64_e32 v[124:125], v[130:131], v[124:125]
	v_add_f64_e32 v[118:119], v[176:177], v[118:119]
	;; [unrolled: 1-line block ×4, first 2 shown]
	v_add_nc_u32_e32 v230, 0x660, v252
	v_add_f64_e32 v[232:233], v[232:233], v[247:248]
	v_add_f64_e32 v[234:235], v[234:235], v[253:254]
	;; [unrolled: 1-line block ×3, first 2 shown]
	scratch_store_b128 off, v[164:167], off offset:1320 ; 16-byte Folded Spill
	v_add_f64_e32 v[164:165], v[192:193], v[170:171]
	v_mul_f64_e32 v[166:167], s[8:9], v[174:175]
	v_fma_f64 v[170:171], v[72:73], s[52:53], v[98:99]
	v_fma_f64 v[98:99], v[72:73], s[44:45], v[98:99]
	v_add_f64_e32 v[8:9], v[92:93], v[8:9]
	v_mul_f64_e32 v[92:93], s[16:17], v[174:175]
	v_fma_f64 v[174:175], v[72:73], s[38:39], v[194:195]
	v_add_f64_e32 v[94:95], v[94:95], v[122:123]
	v_fma_f64 v[122:123], v[134:135], s[12:13], v[172:173]
	v_add_f64_e32 v[108:109], v[190:191], v[108:109]
	v_fma_f64 v[172:173], v[134:135], s[12:13], -v[172:173]
	v_mul_f64_e32 v[190:191], s[24:25], v[80:81]
	v_add_f64_e32 v[130:131], v[148:149], v[142:143]
	v_mul_f64_e32 v[148:149], s[14:15], v[80:81]
	v_add_f64_e32 v[102:103], v[102:103], v[128:129]
	v_add_f64_e32 v[128:129], v[132:133], v[140:141]
	v_fma_f64 v[132:133], v[134:135], s[16:17], v[90:91]
	v_add_f64_e32 v[88:89], v[88:89], v[152:153]
	v_fma_f64 v[90:91], v[134:135], s[16:17], -v[90:91]
	v_fma_f64 v[134:135], v[180:181], s[10:11], v[86:87]
	v_add_f64_e32 v[162:163], v[184:185], v[162:163]
	v_mul_f64_e32 v[184:185], s[2:3], v[80:81]
	v_add_f64_e32 v[104:105], v[168:169], v[104:105]
	v_mul_f64_e32 v[168:169], s[50:51], v[158:159]
	v_mul_f64_e32 v[140:141], s[28:29], v[158:159]
	v_fma_f64 v[86:87], v[180:181], s[10:11], -v[86:87]
	v_add_f64_e32 v[192:193], v[232:233], v[241:242]
	v_add_f64_e32 v[196:197], v[234:235], v[12:13]
	v_add_nc_u32_e32 v232, 0x440, v252
	v_add_f64_e32 v[84:85], v[84:85], v[164:165]
	v_fma_f64 v[194:195], v[72:73], s[18:19], v[166:167]
	v_add_f64_e32 v[106:107], v[170:171], v[106:107]
	v_add_f64_e32 v[98:99], v[98:99], v[120:121]
	v_fma_f64 v[120:121], v[72:73], s[54:55], v[166:167]
	v_fma_f64 v[166:167], v[72:73], s[46:47], v[186:187]
	v_mul_f64_e32 v[170:171], s[16:17], v[80:81]
	v_fma_f64 v[186:187], v[72:73], s[40:41], v[186:187]
	v_fma_f64 v[142:143], v[72:73], s[36:37], v[92:93]
	v_add_f64_e32 v[152:153], v[174:175], v[160:161]
	v_fma_f64 v[72:73], v[72:73], s[50:51], v[92:93]
	v_fma_f64 v[160:161], v[74:75], s[48:49], v[182:183]
	v_add_f64_e64 v[164:165], v[76:77], -v[78:79]
	v_add_f64_e32 v[92:93], v[76:77], v[78:79]
	v_add_f64_e32 v[172:173], v[172:173], v[150:151]
	v_fma_f64 v[150:151], v[180:181], s[24:25], v[188:189]
	v_mul_f64_e32 v[174:175], s[30:31], v[158:159]
	v_fma_f64 v[182:183], v[74:75], s[22:23], v[182:183]
	v_add_f64_e32 v[0:1], v[90:91], v[0:1]
	v_mul_f64_e32 v[90:91], s[52:53], v[158:159]
	v_add_f64_e32 v[156:157], v[122:123], v[156:157]
	v_fma_f64 v[188:189], v[180:181], s[24:25], -v[188:189]
	v_add_f64_e32 v[144:145], v[132:133], v[144:145]
	v_fma_f64 v[78:79], v[180:181], s[16:17], v[168:169]
	v_fma_f64 v[168:169], v[180:181], s[16:17], -v[168:169]
	v_fma_f64 v[132:133], v[180:181], s[14:15], v[140:141]
	v_add_f64_e32 v[8:9], v[86:87], v[8:9]
	v_add_f64_e64 v[122:123], v[64:65], -v[66:67]
	v_fma_f64 v[140:141], v[180:181], s[14:15], -v[140:141]
	v_add_f64_e32 v[96:97], v[194:195], v[96:97]
	v_mul_f64_e32 v[194:195], s[18:19], v[158:159]
	v_add_f64_e32 v[146:147], v[120:121], v[146:147]
	v_add_f64_e32 v[76:77], v[166:167], v[154:155]
	v_fma_f64 v[154:155], v[74:75], s[36:37], v[170:171]
	v_fma_f64 v[170:171], v[74:75], s[50:51], v[170:171]
	v_add_f64_e32 v[2:3], v[186:187], v[2:3]
	v_fma_f64 v[186:187], v[74:75], s[38:39], v[190:191]
	v_fma_f64 v[190:191], v[74:75], s[26:27], v[190:191]
	;; [unrolled: 3-line block ×3, first 2 shown]
	v_mul_f64_e32 v[166:167], s[40:41], v[158:159]
	v_add_f64_e32 v[6:7], v[72:73], v[6:7]
	v_add_f64_e32 v[72:73], v[134:135], v[82:83]
	;; [unrolled: 1-line block ×3, first 2 shown]
	v_fma_f64 v[100:101], v[74:75], s[42:43], v[184:185]
	v_fma_f64 v[158:159], v[74:75], s[30:31], v[184:185]
	;; [unrolled: 1-line block ×3, first 2 shown]
	v_fma_f64 v[134:135], v[180:181], s[2:3], -v[174:175]
	v_add_f64_e32 v[120:121], v[64:65], v[66:67]
	v_mul_f64_e32 v[66:67], s[12:13], v[92:93]
	v_add_f64_e32 v[10:11], v[182:183], v[10:11]
	v_mul_f64_e32 v[64:65], s[40:41], v[164:165]
	v_add_f64_e32 v[94:95], v[168:169], v[94:95]
	v_add_f64_e32 v[182:183], v[188:189], v[126:127]
	;; [unrolled: 1-line block ×4, first 2 shown]
	v_mul_f64_e32 v[140:141], s[22:23], v[164:165]
	v_mul_f64_e32 v[200:201], s[14:15], v[92:93]
	s_wait_loadcnt 0x4
	v_add_f64_e32 v[178:179], v[196:197], v[245:246]
	v_mul_f64_e32 v[196:197], s[8:9], v[80:81]
	v_add_f64_e32 v[106:107], v[154:155], v[106:107]
	v_add_f64_e32 v[98:99], v[170:171], v[98:99]
	;; [unrolled: 1-line block ×3, first 2 shown]
	v_mul_f64_e32 v[118:119], s[42:43], v[164:165]
	v_add_f64_e32 v[184:185], v[190:191], v[108:109]
	v_fma_f64 v[108:109], v[180:181], s[8:9], v[194:195]
	v_add_f64_e32 v[188:189], v[142:143], v[138:139]
	v_add_f64_e32 v[190:191], v[148:149], v[124:125]
	v_fma_f64 v[154:155], v[180:181], s[12:13], v[166:167]
	v_fma_f64 v[166:167], v[180:181], s[12:13], -v[166:167]
	v_fma_f64 v[138:139], v[180:181], s[8:9], -v[194:195]
	v_fma_f64 v[194:195], v[180:181], s[34:35], v[90:91]
	v_fma_f64 v[90:91], v[180:181], s[34:35], -v[90:91]
	v_mul_f64_e32 v[142:143], s[10:11], v[92:93]
	v_add_f64_e32 v[180:181], v[86:87], v[128:129]
	v_add_f64_e32 v[198:199], v[100:101], v[130:131]
	;; [unrolled: 1-line block ×3, first 2 shown]
	v_fma_f64 v[100:101], v[122:123], s[46:47], v[66:67]
	v_add_f64_e32 v[152:153], v[158:159], v[152:153]
	v_mul_f64_e32 v[158:159], s[20:21], v[164:165]
	v_fma_f64 v[16:17], v[120:121], s[12:13], -v[64:65]
	v_fma_f64 v[88:89], v[120:121], s[12:13], v[64:65]
	v_mul_f64_e32 v[86:87], s[18:19], v[164:165]
	v_fma_f64 v[202:203], v[120:121], s[10:11], v[140:141]
	s_wait_loadcnt 0x3
	v_add_f64_e32 v[178:179], v[178:179], v[20:21]
	v_add_f64_e32 v[124:125], v[154:155], v[162:163]
	v_mul_f64_e32 v[162:163], s[16:17], v[92:93]
	v_add_f64_e32 v[128:129], v[166:167], v[84:85]
	v_fma_f64 v[84:85], v[122:123], s[40:41], v[66:67]
	v_add_f64_e32 v[64:65], v[90:91], v[0:1]
	v_fma_f64 v[0:1], v[120:121], s[10:11], -v[140:141]
	v_add_f64_e32 v[72:73], v[88:89], v[72:73]
	v_add_f64_e32 v[88:89], v[202:203], v[170:171]
	v_fma_f64 v[208:209], v[122:123], s[36:37], v[162:163]
	s_wait_loadcnt 0x0
	v_add_f64_e64 v[150:151], v[18:19], -v[14:15]
	v_add_f64_e32 v[148:149], v[18:19], v[14:15]
	s_clause 0x2
	scratch_load_b64 v[18:19], off, off offset:1544 th:TH_LOAD_LU
	scratch_load_b64 v[249:250], off, off offset:1360 th:TH_LOAD_LU
	;; [unrolled: 1-line block ×3, first 2 shown]
	v_add_f64_e32 v[176:177], v[192:193], v[243:244]
	v_mul_f64_e32 v[192:193], s[12:13], v[80:81]
	v_mul_f64_e32 v[80:81], s[34:35], v[80:81]
	v_mul_f64_e32 v[140:141], s[2:3], v[148:149]
	s_delay_alu instid0(VALU_DEP_3) | instskip(SKIP_2) | instid1(VALU_DEP_3)
	v_fma_f64 v[160:161], v[74:75], s[46:47], v[192:193]
	v_fma_f64 v[168:169], v[74:75], s[40:41], v[192:193]
	v_fma_f64 v[192:193], v[74:75], s[18:19], v[196:197]
	v_add_f64_e32 v[126:127], v[160:161], v[96:97]
	v_mul_f64_e32 v[160:161], s[50:51], v[164:165]
	s_delay_alu instid0(VALU_DEP_4) | instskip(SKIP_1) | instid1(VALU_DEP_4)
	v_add_f64_e32 v[130:131], v[168:169], v[146:147]
	v_fma_f64 v[168:169], v[120:121], s[2:3], -v[118:119]
	v_add_f64_e32 v[126:127], v[208:209], v[126:127]
	s_delay_alu instid0(VALU_DEP_4) | instskip(NEXT) | instid1(VALU_DEP_1)
	v_fma_f64 v[206:207], v[120:121], s[16:17], v[160:161]
	v_add_f64_e32 v[124:125], v[206:207], v[124:125]
	s_wait_loadcnt 0x2
	v_add_f64_e64 v[22:23], v[18:19], -v[54:55]
	s_wait_loadcnt 0x1
	v_add_f64_e32 v[176:177], v[176:177], v[249:250]
	s_wait_loadcnt 0x0
	v_add_f64_e32 v[146:147], v[110:111], v[14:15]
	s_delay_alu instid0(VALU_DEP_2)
	v_add_f64_e32 v[174:175], v[176:177], v[24:25]
	v_add_f64_e32 v[176:177], v[178:179], v[34:35]
	v_add_f64_e32 v[178:179], v[186:187], v[116:117]
	v_fma_f64 v[116:117], v[74:75], s[54:55], v[196:197]
	v_add_f64_e32 v[186:187], v[132:133], v[136:137]
	v_mul_f64_e32 v[136:137], s[2:3], v[92:93]
	v_fma_f64 v[196:197], v[74:75], s[44:45], v[80:81]
	v_fma_f64 v[74:75], v[74:75], s[52:53], v[80:81]
	v_mul_f64_e32 v[80:81], s[8:9], v[92:93]
	v_add_f64_e32 v[132:133], v[108:109], v[156:157]
	v_mul_f64_e32 v[156:157], s[52:53], v[164:165]
	v_add_f64_e32 v[108:109], v[16:17], v[8:9]
	v_fma_f64 v[8:9], v[120:121], s[16:17], -v[160:161]
	v_mul_f64_e32 v[164:165], s[38:39], v[164:165]
	v_add_f64_e32 v[96:97], v[174:175], v[40:41]
	v_add_f64_e32 v[154:155], v[176:177], v[44:45]
	v_mul_f64_e32 v[174:175], s[34:35], v[92:93]
	v_add_f64_e32 v[134:135], v[116:117], v[76:77]
	v_fma_f64 v[76:77], v[120:121], s[2:3], v[118:119]
	v_fma_f64 v[176:177], v[122:123], s[42:43], v[136:137]
	v_add_f64_e32 v[118:119], v[194:195], v[144:145]
	v_add_f64_e32 v[66:67], v[74:75], v[6:7]
	v_fma_f64 v[6:7], v[122:123], s[54:55], v[80:81]
	v_add_f64_e64 v[144:145], v[110:111], -v[14:15]
	v_add_f64_e32 v[110:111], v[84:85], v[10:11]
	v_fma_f64 v[10:11], v[122:123], s[50:51], v[162:163]
	v_fma_f64 v[166:167], v[122:123], s[30:31], v[136:137]
	v_add_f64_e32 v[136:137], v[138:139], v[172:173]
	v_fma_f64 v[172:173], v[122:123], s[48:49], v[142:143]
	v_add_f64_e32 v[138:139], v[192:193], v[2:3]
	v_add_f64_e32 v[116:117], v[196:197], v[4:5]
	v_fma_f64 v[2:3], v[122:123], s[22:23], v[142:143]
	v_add_f64_e32 v[74:75], v[100:101], v[82:83]
	v_fma_f64 v[100:101], v[122:123], s[18:19], v[80:81]
	v_fma_f64 v[194:195], v[120:121], s[14:15], v[158:159]
	;; [unrolled: 1-line block ×3, first 2 shown]
	v_fma_f64 v[158:159], v[120:121], s[14:15], -v[158:159]
	v_fma_f64 v[200:201], v[122:123], s[20:21], v[200:201]
	v_mul_f64_e32 v[142:143], s[30:31], v[150:151]
	v_fma_f64 v[16:17], v[120:121], s[34:35], v[156:157]
	v_add_f64_e32 v[84:85], v[0:1], v[182:183]
	v_mul_f64_e32 v[0:1], s[24:25], v[92:93]
	v_add_f64_e32 v[128:129], v[8:9], v[128:129]
	v_add_f64_e64 v[8:9], v[56:57], -v[62:63]
	v_fma_f64 v[4:5], v[120:121], s[8:9], v[86:87]
	v_fma_f64 v[192:193], v[120:121], s[8:9], -v[86:87]
	v_fma_f64 v[156:157], v[120:121], s[34:35], -v[156:157]
	v_mul_f64_e32 v[182:183], s[22:23], v[150:151]
	v_add_f64_e32 v[204:205], v[96:97], v[48:49]
	v_add_f64_e32 v[154:155], v[154:155], v[52:53]
	v_fma_f64 v[160:161], v[122:123], s[44:45], v[174:175]
	v_fma_f64 v[162:163], v[122:123], s[52:53], v[174:175]
	v_add_f64_e32 v[80:81], v[76:77], v[78:79]
	v_add_f64_e32 v[78:79], v[176:177], v[98:99]
	;; [unrolled: 1-line block ×3, first 2 shown]
	v_mul_f64_e32 v[174:175], s[52:53], v[150:151]
	v_add_f64_e32 v[98:99], v[6:7], v[188:189]
	v_mul_f64_e32 v[168:169], s[8:9], v[148:149]
	v_mul_f64_e32 v[176:177], s[34:35], v[148:149]
	v_add_f64_e32 v[130:131], v[10:11], v[130:131]
	v_add_f64_e32 v[10:11], v[56:57], v[62:63]
	;; [unrolled: 1-line block ×4, first 2 shown]
	v_fma_f64 v[172:173], v[144:145], s[42:43], v[140:141]
	v_mul_f64_e32 v[166:167], s[54:55], v[150:151]
	v_add_f64_e32 v[86:87], v[2:3], v[184:185]
	v_mul_f64_e32 v[2:3], s[36:37], v[150:151]
	v_add_f64_e32 v[94:95], v[100:101], v[190:191]
	v_add_f64_e32 v[190:191], v[50:51], v[60:61]
	v_add_f64_e64 v[50:51], v[50:51], -v[60:61]
	v_add_f64_e32 v[104:105], v[158:159], v[104:105]
	v_add_f64_e32 v[106:107], v[200:201], v[152:153]
	v_mul_f64_e32 v[158:159], s[24:25], v[148:149]
	v_fma_f64 v[170:171], v[146:147], s[2:3], v[142:143]
	v_add_f64_e32 v[132:133], v[16:17], v[132:133]
	v_fma_f64 v[16:17], v[146:147], s[2:3], -v[142:143]
	v_fma_f64 v[142:143], v[122:123], s[26:27], v[0:1]
	v_fma_f64 v[122:123], v[122:123], s[38:39], v[0:1]
	v_mul_f64_e32 v[0:1], s[40:41], v[150:151]
	v_add_f64_e32 v[96:97], v[4:5], v[186:187]
	v_add_f64_e32 v[92:93], v[192:193], v[102:103]
	v_mul_f64_e32 v[4:5], s[16:17], v[148:149]
	v_add_f64_e32 v[102:103], v[196:197], v[198:199]
	v_mul_f64_e32 v[178:179], s[14:15], v[148:149]
	v_add_f64_e32 v[136:137], v[156:157], v[136:137]
	v_fma_f64 v[156:157], v[144:145], s[30:31], v[140:141]
	v_mul_f64_e32 v[184:185], s[10:11], v[148:149]
	v_mul_f64_e32 v[148:149], s[12:13], v[148:149]
	;; [unrolled: 1-line block ×4, first 2 shown]
	v_add_f64_e32 v[100:101], v[194:195], v[180:181]
	v_fma_f64 v[140:141], v[120:121], s[24:25], v[164:165]
	v_fma_f64 v[120:121], v[120:121], s[24:25], -v[164:165]
	v_fma_f64 v[200:201], v[146:147], s[10:11], v[182:183]
	v_fma_f64 v[182:183], v[146:147], s[10:11], -v[182:183]
	v_mul_f64_e32 v[210:211], s[20:21], v[8:9]
	v_mul_f64_e32 v[220:221], s[48:49], v[8:9]
	;; [unrolled: 1-line block ×4, first 2 shown]
	v_add_f64_e32 v[6:7], v[204:205], v[54:55]
	v_add_f64_e32 v[152:153], v[154:155], v[58:59]
	v_mul_f64_e32 v[154:155], s[26:27], v[150:151]
	v_add_f64_e32 v[134:135], v[160:161], v[134:135]
	v_mul_f64_e32 v[160:161], s[20:21], v[150:151]
	v_add_f64_e32 v[138:139], v[162:163], v[138:139]
	v_fma_f64 v[162:163], v[146:147], s[8:9], v[166:167]
	v_fma_f64 v[180:181], v[144:145], s[18:19], v[168:169]
	v_fma_f64 v[166:167], v[146:147], s[8:9], -v[166:167]
	v_fma_f64 v[168:169], v[144:145], s[54:55], v[168:169]
	v_fma_f64 v[164:165], v[146:147], s[16:17], v[2:3]
	;; [unrolled: 1-line block ×3, first 2 shown]
	v_fma_f64 v[2:3], v[146:147], s[16:17], -v[2:3]
	v_fma_f64 v[188:189], v[144:145], s[44:45], v[176:177]
	v_add_f64_e32 v[16:17], v[112:113], v[16:17]
	v_fma_f64 v[176:177], v[144:145], s[52:53], v[176:177]
	v_mul_f64_e32 v[204:205], s[24:25], v[10:11]
	v_fma_f64 v[206:207], v[146:147], s[12:13], v[0:1]
	v_mul_f64_e32 v[212:213], s[14:15], v[10:11]
	v_fma_f64 v[0:1], v[146:147], s[12:13], -v[0:1]
	v_fma_f64 v[186:187], v[144:145], s[50:51], v[4:5]
	v_fma_f64 v[4:5], v[144:145], s[36:37], v[4:5]
	;; [unrolled: 1-line block ×4, first 2 shown]
	v_add_f64_e32 v[156:157], v[114:115], v[156:157]
	v_fma_f64 v[202:203], v[144:145], s[48:49], v[184:185]
	v_fma_f64 v[184:185], v[144:145], s[22:23], v[184:185]
	;; [unrolled: 1-line block ×4, first 2 shown]
	v_fma_f64 v[192:193], v[190:191], s[8:9], -v[192:193]
	v_fma_f64 v[218:219], v[190:191], s[24:25], v[198:199]
	v_mul_f64_e32 v[222:223], s[10:11], v[10:11]
	v_add_f64_e32 v[200:201], v[112:113], v[200:201]
	v_add_f64_e32 v[182:183], v[112:113], v[182:183]
	v_fma_f64 v[198:199], v[190:191], s[24:25], -v[198:199]
	v_mul_f64_e32 v[228:229], s[34:35], v[10:11]
	v_fma_f64 v[233:234], v[190:191], s[14:15], v[210:211]
	v_fma_f64 v[210:211], v[190:191], s[14:15], -v[210:211]
	v_mul_f64_e32 v[239:240], s[16:17], v[10:11]
	v_add_f64_e32 v[56:57], v[6:7], v[60:61]
	v_mul_f64_e32 v[60:61], s[8:9], v[10:11]
	v_add_f64_e32 v[62:63], v[152:153], v[62:63]
	v_fma_f64 v[6:7], v[146:147], s[24:25], v[154:155]
	v_fma_f64 v[152:153], v[146:147], s[24:25], -v[154:155]
	v_fma_f64 v[154:155], v[144:145], s[26:27], v[158:159]
	v_add_f64_e32 v[158:159], v[112:113], v[170:171]
	v_add_f64_e32 v[170:171], v[114:115], v[172:173]
	v_fma_f64 v[172:173], v[146:147], s[34:35], v[174:175]
	v_fma_f64 v[174:175], v[146:147], s[34:35], -v[174:175]
	v_fma_f64 v[194:195], v[146:147], s[14:15], v[160:161]
	v_fma_f64 v[160:161], v[146:147], s[14:15], -v[160:161]
	v_add_f64_e32 v[162:163], v[112:113], v[162:163]
	v_fma_f64 v[144:145], v[144:145], s[40:41], v[148:149]
	v_mul_f64_e32 v[146:147], s[40:41], v[8:9]
	v_mul_f64_e32 v[148:149], s[12:13], v[10:11]
	v_add_f64_e32 v[180:181], v[114:115], v[180:181]
	v_add_f64_e32 v[166:167], v[112:113], v[166:167]
	;; [unrolled: 1-line block ×13, first 2 shown]
	v_fma_f64 v[58:59], v[50:51], s[38:39], v[204:205]
	v_add_f64_e32 v[184:185], v[114:115], v[184:185]
	v_add_f64_e32 v[206:207], v[112:113], v[206:207]
	;; [unrolled: 1-line block ×3, first 2 shown]
	v_fma_f64 v[204:205], v[50:51], s[26:27], v[204:205]
	v_fma_f64 v[235:236], v[50:51], s[28:29], v[212:213]
	;; [unrolled: 1-line block ×3, first 2 shown]
	v_add_f64_e32 v[0:1], v[112:113], v[0:1]
	v_add_f64_e32 v[16:17], v[192:193], v[16:17]
	v_mul_f64_e32 v[8:9], s[42:43], v[8:9]
	v_mul_f64_e32 v[10:11], s[2:3], v[10:11]
	v_fma_f64 v[192:193], v[50:51], s[22:23], v[222:223]
	v_fma_f64 v[216:217], v[50:51], s[18:19], v[60:61]
	;; [unrolled: 1-line block ×3, first 2 shown]
	v_add_f64_e32 v[6:7], v[112:113], v[6:7]
	v_add_f64_e32 v[152:153], v[112:113], v[152:153]
	;; [unrolled: 1-line block ×9, first 2 shown]
	v_fma_f64 v[114:115], v[190:191], s[12:13], v[146:147]
	v_fma_f64 v[144:145], v[50:51], s[46:47], v[148:149]
	v_fma_f64 v[146:147], v[190:191], s[12:13], -v[146:147]
	v_fma_f64 v[148:149], v[50:51], s[40:41], v[148:149]
	v_fma_f64 v[214:215], v[190:191], s[10:11], -v[220:221]
	v_add_f64_e32 v[166:167], v[198:199], v[166:167]
	v_fma_f64 v[198:199], v[50:51], s[52:53], v[228:229]
	v_add_f64_e32 v[164:165], v[233:234], v[164:165]
	v_add_f64_e32 v[2:3], v[210:211], v[2:3]
	v_fma_f64 v[210:211], v[50:51], s[36:37], v[239:240]
	v_mul_f64_e32 v[233:234], s[14:15], v[28:29]
	v_add_f64_e32 v[58:59], v[58:59], v[180:181]
	v_fma_f64 v[180:181], v[190:191], s[34:35], v[226:227]
	v_add_f64_e32 v[168:169], v[204:205], v[168:169]
	v_add_f64_e32 v[186:187], v[235:236], v[186:187]
	;; [unrolled: 1-line block ×3, first 2 shown]
	v_fma_f64 v[204:205], v[190:191], s[16:17], v[237:238]
	v_mul_f64_e32 v[212:213], s[20:21], v[224:225]
	v_mul_f64_e32 v[235:236], s[46:47], v[224:225]
	v_add_f64_e32 v[170:171], v[216:217], v[170:171]
	v_add_f64_e32 v[216:217], v[18:19], v[54:55]
	scratch_load_b64 v[18:19], off, off offset:1536 th:TH_LOAD_LU ; 8-byte Folded Reload
	v_add_f64_e32 v[60:61], v[60:61], v[156:157]
	v_add_f64_e32 v[156:157], v[218:219], v[162:163]
	v_fma_f64 v[162:163], v[190:191], s[10:11], v[220:221]
	v_mul_f64_e32 v[218:219], s[36:37], v[224:225]
	v_fma_f64 v[220:221], v[50:51], s[48:49], v[222:223]
	v_mul_f64_e32 v[54:55], s[16:17], v[28:29]
	v_fma_f64 v[222:223], v[190:191], s[34:35], -v[226:227]
	v_fma_f64 v[226:227], v[50:51], s[44:45], v[228:229]
	v_add_f64_e32 v[6:7], v[114:115], v[6:7]
	v_add_f64_e32 v[114:115], v[144:145], v[150:151]
	v_fma_f64 v[144:145], v[190:191], s[16:17], -v[237:238]
	v_fma_f64 v[150:151], v[50:51], s[50:51], v[239:240]
	v_mul_f64_e32 v[237:238], s[12:13], v[28:29]
	v_add_f64_e32 v[146:147], v[146:147], v[152:153]
	v_add_f64_e32 v[148:149], v[148:149], v[154:155]
	v_fma_f64 v[152:153], v[190:191], s[2:3], v[8:9]
	v_fma_f64 v[154:155], v[50:51], s[30:31], v[10:11]
	v_fma_f64 v[8:9], v[190:191], s[2:3], -v[8:9]
	v_fma_f64 v[10:11], v[50:51], s[42:43], v[10:11]
	v_mul_f64_e32 v[50:51], s[44:45], v[224:225]
	v_mul_f64_e32 v[190:191], s[34:35], v[28:29]
	v_add_f64_e32 v[174:175], v[214:215], v[174:175]
	v_mul_f64_e32 v[214:215], s[18:19], v[224:225]
	v_add_f64_e32 v[202:203], v[210:211], v[202:203]
	v_add_f64_e32 v[180:181], v[180:181], v[194:195]
	;; [unrolled: 1-line block ×3, first 2 shown]
	v_add_f64_e64 v[196:197], v[46:47], -v[52:53]
	v_add_f64_e32 v[46:47], v[46:47], v[52:53]
	v_mul_f64_e32 v[198:199], s[30:31], v[224:225]
	v_fma_f64 v[210:211], v[22:23], s[28:29], v[233:234]
	v_add_f64_e32 v[200:201], v[204:205], v[200:201]
	v_fma_f64 v[204:205], v[216:217], s[14:15], v[212:213]
	v_fma_f64 v[212:213], v[216:217], s[14:15], -v[212:213]
	v_add_f64_e32 v[162:163], v[162:163], v[172:173]
	v_add_f64_e32 v[172:173], v[192:193], v[188:189]
	v_fma_f64 v[188:189], v[216:217], s[16:17], v[218:219]
	v_add_f64_e32 v[176:177], v[220:221], v[176:177]
	v_fma_f64 v[192:193], v[22:23], s[50:51], v[54:55]
	v_mul_f64_e32 v[220:221], s[8:9], v[28:29]
	v_add_f64_e32 v[160:161], v[222:223], v[160:161]
	v_add_f64_e32 v[178:179], v[226:227], v[178:179]
	v_fma_f64 v[52:53], v[216:217], s[16:17], -v[218:219]
	v_fma_f64 v[54:55], v[22:23], s[36:37], v[54:55]
	v_mul_f64_e32 v[218:219], s[2:3], v[28:29]
	v_fma_f64 v[222:223], v[22:23], s[20:21], v[233:234]
	v_add_f64_e32 v[144:145], v[144:145], v[182:183]
	v_add_f64_e32 v[150:151], v[150:151], v[184:185]
	v_fma_f64 v[182:183], v[216:217], s[12:13], v[235:236]
	v_fma_f64 v[184:185], v[22:23], s[40:41], v[237:238]
	v_mul_f64_e32 v[226:227], s[26:27], v[224:225]
	v_mul_f64_e32 v[233:234], s[24:25], v[28:29]
	v_add_f64_e32 v[0:1], v[8:9], v[0:1]
	v_add_f64_e32 v[8:9], v[10:11], v[112:113]
	v_fma_f64 v[10:11], v[216:217], s[34:35], v[50:51]
	v_fma_f64 v[112:113], v[22:23], s[52:53], v[190:191]
	v_fma_f64 v[50:51], v[216:217], s[34:35], -v[50:51]
	v_fma_f64 v[190:191], v[22:23], s[44:45], v[190:191]
	v_mul_f64_e32 v[28:29], s[10:11], v[28:29]
	v_fma_f64 v[237:238], v[22:23], s[46:47], v[237:238]
	v_add_f64_e32 v[152:153], v[152:153], v[206:207]
	v_add_f64_e32 v[154:155], v[154:155], v[208:209]
	v_fma_f64 v[208:209], v[216:217], s[8:9], -v[214:215]
	v_add_f64_e32 v[58:59], v[210:211], v[58:59]
	v_mul_f64_e32 v[210:211], s[12:13], v[46:47]
	v_fma_f64 v[235:236], v[216:217], s[12:13], -v[235:236]
	v_add_f64_e32 v[156:157], v[204:205], v[156:157]
	v_add_f64_e32 v[166:167], v[212:213], v[166:167]
	v_mul_f64_e32 v[204:205], s[40:41], v[196:197]
	v_add_f64_e32 v[158:159], v[188:189], v[158:159]
	v_mul_f64_e32 v[188:189], s[22:23], v[224:225]
	v_add_f64_e32 v[170:171], v[192:193], v[170:171]
	v_fma_f64 v[192:193], v[216:217], s[8:9], v[214:215]
	v_fma_f64 v[206:207], v[22:23], s[54:55], v[220:221]
	;; [unrolled: 1-line block ×3, first 2 shown]
	v_add_f64_e32 v[220:221], v[42:43], v[48:49]
	v_add_f64_e64 v[42:43], v[42:43], -v[48:49]
	v_mul_f64_e32 v[48:49], s[26:27], v[196:197]
	v_mul_f64_e32 v[224:225], s[24:25], v[46:47]
	v_add_f64_e32 v[16:17], v[52:53], v[16:17]
	v_add_f64_e32 v[52:53], v[54:55], v[60:61]
	v_fma_f64 v[54:55], v[216:217], s[2:3], v[198:199]
	v_fma_f64 v[60:61], v[22:23], s[42:43], v[218:219]
	v_fma_f64 v[198:199], v[216:217], s[2:3], -v[198:199]
	v_fma_f64 v[218:219], v[22:23], s[30:31], v[218:219]
	v_add_f64_e32 v[168:169], v[222:223], v[168:169]
	v_add_f64_e32 v[164:165], v[182:183], v[164:165]
	;; [unrolled: 1-line block ×3, first 2 shown]
	v_fma_f64 v[184:185], v[216:217], s[24:25], v[226:227]
	v_fma_f64 v[186:187], v[22:23], s[38:39], v[233:234]
	v_fma_f64 v[212:213], v[216:217], s[24:25], -v[226:227]
	v_fma_f64 v[222:223], v[22:23], s[26:27], v[233:234]
	v_mul_f64_e32 v[226:227], s[44:45], v[196:197]
	v_mul_f64_e32 v[233:234], s[34:35], v[46:47]
	v_add_f64_e32 v[6:7], v[10:11], v[6:7]
	v_add_f64_e32 v[10:11], v[112:113], v[114:115]
	v_add_f64_e32 v[50:51], v[50:51], v[146:147]
	v_add_f64_e32 v[112:113], v[190:191], v[148:149]
	v_fma_f64 v[148:149], v[22:23], s[48:49], v[28:29]
	v_mul_f64_e32 v[190:191], s[2:3], v[46:47]
	v_add_f64_e32 v[4:5], v[237:238], v[4:5]
	v_mul_f64_e32 v[114:115], s[42:43], v[196:197]
	v_fma_f64 v[22:23], v[22:23], s[22:23], v[28:29]
	v_add_f64_e32 v[28:29], v[208:209], v[174:175]
	v_mul_f64_e32 v[208:209], s[16:17], v[46:47]
	v_add_f64_e32 v[2:3], v[235:236], v[2:3]
	v_fma_f64 v[146:147], v[216:217], s[10:11], v[188:189]
	v_fma_f64 v[188:189], v[216:217], s[10:11], -v[188:189]
	v_add_f64_e32 v[162:163], v[192:193], v[162:163]
	v_add_f64_e32 v[172:173], v[206:207], v[172:173]
	v_add_f64_e32 v[174:175], v[214:215], v[176:177]
	v_mul_f64_e32 v[206:207], s[36:37], v[196:197]
	v_mul_f64_e32 v[214:215], s[22:23], v[196:197]
	v_fma_f64 v[176:177], v[220:221], s[24:25], v[48:49]
	v_fma_f64 v[192:193], v[42:43], s[38:39], v[224:225]
	v_mul_f64_e32 v[216:217], s[10:11], v[46:47]
	v_add_f64_e32 v[54:55], v[54:55], v[180:181]
	v_add_f64_e32 v[60:61], v[60:61], v[194:195]
	;; [unrolled: 1-line block ×4, first 2 shown]
	v_add_f64_e64 v[180:181], v[38:39], -v[44:45]
	v_add_f64_e32 v[38:39], v[38:39], v[44:45]
	v_fma_f64 v[44:45], v[220:221], s[24:25], -v[48:49]
	v_fma_f64 v[48:49], v[42:43], s[26:27], v[224:225]
	v_fma_f64 v[194:195], v[220:221], s[12:13], v[204:205]
	;; [unrolled: 1-line block ×3, first 2 shown]
	v_add_f64_e32 v[184:185], v[184:185], v[200:201]
	v_add_f64_e32 v[186:187], v[186:187], v[202:203]
	v_fma_f64 v[200:201], v[220:221], s[12:13], -v[204:205]
	v_fma_f64 v[202:203], v[42:43], s[40:41], v[210:211]
	v_add_f64_e32 v[150:151], v[222:223], v[150:151]
	v_fma_f64 v[204:205], v[220:221], s[34:35], v[226:227]
	v_fma_f64 v[218:219], v[42:43], s[44:45], v[233:234]
	v_mul_f64_e32 v[222:223], s[28:29], v[196:197]
	v_add_f64_e32 v[148:149], v[148:149], v[154:155]
	v_mul_f64_e32 v[154:155], s[18:19], v[196:197]
	v_fma_f64 v[210:211], v[42:43], s[52:53], v[233:234]
	v_add_f64_e32 v[144:145], v[212:213], v[144:145]
	v_fma_f64 v[212:213], v[220:221], s[34:35], -v[226:227]
	v_mul_f64_e32 v[224:225], s[14:15], v[46:47]
	v_fma_f64 v[226:227], v[220:221], s[2:3], v[114:115]
	v_mul_f64_e32 v[46:47], s[8:9], v[46:47]
	v_add_f64_e32 v[8:9], v[22:23], v[8:9]
	v_fma_f64 v[22:23], v[220:221], s[2:3], -v[114:115]
	v_fma_f64 v[114:115], v[42:43], s[42:43], v[190:191]
	v_add_f64_e32 v[196:197], v[36:37], v[40:41]
	v_add_f64_e64 v[36:37], v[36:37], -v[40:41]
	v_add_f64_e32 v[146:147], v[146:147], v[152:153]
	v_fma_f64 v[152:153], v[42:43], s[30:31], v[190:191]
	v_add_f64_e32 v[0:1], v[188:189], v[0:1]
	v_add_f64_e32 v[158:159], v[176:177], v[158:159]
	;; [unrolled: 1-line block ×3, first 2 shown]
	v_fma_f64 v[176:177], v[220:221], s[16:17], v[206:207]
	v_fma_f64 v[188:189], v[42:43], s[50:51], v[208:209]
	v_fma_f64 v[190:191], v[220:221], s[16:17], -v[206:207]
	v_fma_f64 v[192:193], v[42:43], s[36:37], v[208:209]
	v_mul_f64_e32 v[40:41], s[52:53], v[180:181]
	v_mul_f64_e32 v[206:207], s[34:35], v[38:39]
	v_add_f64_e32 v[16:17], v[44:45], v[16:17]
	v_add_f64_e32 v[44:45], v[48:49], v[52:53]
	;; [unrolled: 1-line block ×4, first 2 shown]
	v_fma_f64 v[58:59], v[220:221], s[10:11], v[214:215]
	v_fma_f64 v[156:157], v[42:43], s[48:49], v[216:217]
	v_mul_f64_e32 v[194:195], s[48:49], v[180:181]
	v_mul_f64_e32 v[198:199], s[10:11], v[38:39]
	v_add_f64_e32 v[166:167], v[200:201], v[166:167]
	v_add_f64_e32 v[168:169], v[202:203], v[168:169]
	v_fma_f64 v[200:201], v[220:221], s[10:11], -v[214:215]
	v_fma_f64 v[202:203], v[42:43], s[22:23], v[216:217]
	v_add_f64_e32 v[164:165], v[204:205], v[164:165]
	v_add_f64_e32 v[4:5], v[218:219], v[4:5]
	v_fma_f64 v[204:205], v[220:221], s[14:15], v[222:223]
	v_mul_f64_e32 v[216:217], s[18:19], v[180:181]
	v_mul_f64_e32 v[218:219], s[8:9], v[38:39]
	v_add_f64_e32 v[182:183], v[210:211], v[182:183]
	v_fma_f64 v[210:211], v[220:221], s[14:15], -v[222:223]
	v_add_f64_e32 v[2:3], v[212:213], v[2:3]
	v_fma_f64 v[208:209], v[42:43], s[20:21], v[224:225]
	v_fma_f64 v[212:213], v[42:43], s[28:29], v[224:225]
	v_fma_f64 v[214:215], v[42:43], s[54:55], v[46:47]
	v_add_f64_e32 v[22:23], v[22:23], v[50:51]
	v_add_f64_e32 v[50:51], v[114:115], v[112:113]
	v_fma_f64 v[112:113], v[220:221], s[8:9], -v[154:155]
	v_fma_f64 v[42:43], v[42:43], s[18:19], v[46:47]
	v_add_f64_e32 v[6:7], v[226:227], v[6:7]
	v_add_f64_e32 v[10:11], v[152:153], v[10:11]
	v_fma_f64 v[152:153], v[220:221], s[8:9], v[154:155]
	v_add_f64_e32 v[46:47], v[176:177], v[162:163]
	v_add_f64_e32 v[114:115], v[188:189], v[172:173]
	v_mul_f64_e32 v[154:155], s[36:37], v[180:181]
	v_mul_f64_e32 v[162:163], s[16:17], v[38:39]
	v_add_f64_e32 v[28:29], v[190:191], v[28:29]
	v_add_f64_e32 v[172:173], v[192:193], v[174:175]
	v_fma_f64 v[174:175], v[196:197], s[34:35], v[40:41]
	v_fma_f64 v[176:177], v[36:37], s[44:45], v[206:207]
	v_fma_f64 v[40:41], v[196:197], s[34:35], -v[40:41]
	v_fma_f64 v[188:189], v[36:37], s[52:53], v[206:207]
	v_mul_f64_e32 v[190:191], s[40:41], v[180:181]
	v_mul_f64_e32 v[192:193], s[12:13], v[38:39]
	v_add_f64_e32 v[54:55], v[58:59], v[54:55]
	v_add_f64_e32 v[58:59], v[156:157], v[60:61]
	v_fma_f64 v[60:61], v[196:197], s[10:11], v[194:195]
	v_fma_f64 v[156:157], v[36:37], s[22:23], v[198:199]
	v_mul_f64_e32 v[206:207], s[38:39], v[180:181]
	v_mul_f64_e32 v[220:221], s[24:25], v[38:39]
	v_add_f64_e32 v[160:161], v[200:201], v[160:161]
	v_add_f64_e32 v[178:179], v[202:203], v[178:179]
	v_add_f64_e64 v[200:201], v[32:33], -v[34:35]
	v_add_f64_e32 v[32:33], v[32:33], v[34:35]
	v_fma_f64 v[34:35], v[196:197], s[10:11], -v[194:195]
	v_fma_f64 v[194:195], v[36:37], s[48:49], v[198:199]
	v_add_f64_e32 v[184:185], v[204:205], v[184:185]
	v_mul_f64_e32 v[198:199], s[30:31], v[180:181]
	v_mul_f64_e32 v[202:203], s[2:3], v[38:39]
	v_fma_f64 v[204:205], v[36:37], s[54:55], v[218:219]
	v_add_f64_e32 v[144:145], v[210:211], v[144:145]
	v_fma_f64 v[210:211], v[36:37], s[18:19], v[218:219]
	v_mul_f64_e32 v[38:39], s[14:15], v[38:39]
	v_add_f64_e32 v[186:187], v[208:209], v[186:187]
	v_add_f64_e32 v[150:151], v[212:213], v[150:151]
	;; [unrolled: 1-line block ×3, first 2 shown]
	v_fma_f64 v[208:209], v[196:197], s[8:9], -v[216:217]
	v_add_f64_e32 v[0:1], v[112:113], v[0:1]
	v_add_f64_e32 v[8:9], v[42:43], v[8:9]
	v_mul_f64_e32 v[42:43], s[20:21], v[180:181]
	v_add_f64_e32 v[146:147], v[152:153], v[146:147]
	v_fma_f64 v[152:153], v[196:197], s[8:9], v[216:217]
	v_fma_f64 v[112:113], v[196:197], s[16:17], v[154:155]
	;; [unrolled: 1-line block ×3, first 2 shown]
	v_fma_f64 v[154:155], v[196:197], s[16:17], -v[154:155]
	v_fma_f64 v[162:163], v[36:37], s[36:37], v[162:163]
	v_add_f64_e32 v[158:159], v[174:175], v[158:159]
	v_add_f64_e32 v[170:171], v[176:177], v[170:171]
	;; [unrolled: 1-line block ×4, first 2 shown]
	v_fma_f64 v[44:45], v[196:197], s[12:13], v[190:191]
	v_fma_f64 v[174:175], v[36:37], s[46:47], v[192:193]
	v_fma_f64 v[176:177], v[196:197], s[12:13], -v[190:191]
	v_fma_f64 v[188:189], v[36:37], s[40:41], v[192:193]
	v_add_f64_e32 v[48:49], v[60:61], v[48:49]
	v_add_f64_e32 v[52:53], v[156:157], v[52:53]
	v_fma_f64 v[60:61], v[196:197], s[24:25], v[206:207]
	v_fma_f64 v[156:157], v[36:37], s[26:27], v[220:221]
	v_mul_f64_e32 v[212:213], s[44:45], v[200:201]
	v_mul_f64_e32 v[192:193], s[14:15], v[32:33]
	v_add_f64_e32 v[34:35], v[34:35], v[166:167]
	v_add_f64_e32 v[166:167], v[194:195], v[168:169]
	v_fma_f64 v[168:169], v[196:197], s[24:25], -v[206:207]
	v_fma_f64 v[206:207], v[196:197], s[2:3], v[198:199]
	v_mul_f64_e32 v[214:215], s[34:35], v[32:33]
	v_fma_f64 v[216:217], v[36:37], s[42:43], v[202:203]
	v_fma_f64 v[198:199], v[196:197], s[2:3], -v[198:199]
	v_mul_f64_e32 v[30:31], s[20:21], v[200:201]
	v_fma_f64 v[194:195], v[36:37], s[38:39], v[220:221]
	v_fma_f64 v[202:203], v[36:37], s[30:31], v[202:203]
	v_add_f64_e32 v[4:5], v[210:211], v[4:5]
	v_fma_f64 v[210:211], v[36:37], s[28:29], v[38:39]
	v_fma_f64 v[36:37], v[36:37], s[20:21], v[38:39]
	v_add_f64_e32 v[2:3], v[208:209], v[2:3]
	v_fma_f64 v[208:209], v[196:197], s[14:15], v[42:43]
	v_fma_f64 v[42:43], v[196:197], s[14:15], -v[42:43]
	v_add_f64_e32 v[152:153], v[152:153], v[164:165]
	v_add_f64_e32 v[164:165], v[204:205], v[182:183]
	v_mul_f64_e32 v[204:205], s[2:3], v[32:33]
	v_mul_f64_e32 v[182:183], s[30:31], v[200:201]
	v_add_f64_e32 v[6:7], v[112:113], v[6:7]
	v_add_f64_e32 v[10:11], v[180:181], v[10:11]
	v_add_f64_e32 v[22:23], v[154:155], v[22:23]
	v_add_f64_e32 v[50:51], v[162:163], v[50:51]
	v_mul_f64_e32 v[112:113], s[22:23], v[200:201]
	v_mul_f64_e32 v[154:155], s[10:11], v[32:33]
	v_add_f64_e32 v[38:39], v[44:45], v[46:47]
	v_add_f64_e32 v[44:45], v[174:175], v[114:115]
	;; [unrolled: 6-line block ×3, first 2 shown]
	v_mul_f64_e32 v[188:189], s[54:55], v[200:201]
	v_add_f64_e32 v[160:161], v[168:169], v[160:161]
	v_add_f64_e32 v[174:175], v[206:207], v[184:185]
	;; [unrolled: 1-line block ×6, first 2 shown]
	v_mul_f64_e32 v[202:203], s[40:41], v[200:201]
	v_add_f64_e32 v[148:149], v[210:211], v[148:149]
	v_add_f64_e32 v[8:9], v[36:37], v[8:9]
	v_mul_f64_e32 v[36:37], s[50:51], v[200:201]
	v_add_f64_e32 v[146:147], v[208:209], v[146:147]
	v_add_f64_e32 v[0:1], v[42:43], v[0:1]
	s_wait_loadcnt 0x0
	v_add_f64_e32 v[190:191], v[18:19], v[24:25]
	v_add_f64_e64 v[26:27], v[18:19], -v[24:25]
	v_dual_mov_b32 v18, v253 :: v_dual_mov_b32 v19, v254
	s_delay_alu instid0(VALU_DEP_1)
	v_add_f64_e64 v[60:61], v[18:19], -v[20:21]
	v_add_f64_e32 v[20:21], v[18:19], v[20:21]
	v_dual_mov_b32 v18, v247 :: v_dual_mov_b32 v19, v248
	v_fma_f64 v[176:177], v[190:191], s[34:35], v[212:213]
	v_fma_f64 v[156:157], v[26:27], s[28:29], v[192:193]
	;; [unrolled: 1-line block ×3, first 2 shown]
	v_fma_f64 v[184:185], v[190:191], s[34:35], -v[212:213]
	v_fma_f64 v[186:187], v[26:27], s[44:45], v[214:215]
	v_mul_f64_e32 v[192:193], s[8:9], v[32:33]
	v_fma_f64 v[196:197], v[26:27], s[42:43], v[204:205]
	v_fma_f64 v[198:199], v[26:27], s[30:31], v[204:205]
	v_mul_f64_e32 v[204:205], s[12:13], v[32:33]
	v_fma_f64 v[24:25], v[190:191], s[14:15], v[30:31]
	v_fma_f64 v[178:179], v[26:27], s[52:53], v[214:215]
	;; [unrolled: 1-line block ×3, first 2 shown]
	v_fma_f64 v[182:183], v[190:191], s[2:3], -v[182:183]
	v_fma_f64 v[30:31], v[190:191], s[14:15], -v[30:31]
	v_dual_mov_b32 v212, v249 :: v_dual_mov_b32 v213, v250
	v_fma_f64 v[206:207], v[190:191], s[10:11], v[112:113]
	v_fma_f64 v[208:209], v[26:27], s[48:49], v[154:155]
	v_mul_f64_e32 v[32:33], s[16:17], v[32:33]
	v_fma_f64 v[42:43], v[190:191], s[10:11], -v[112:113]
	v_fma_f64 v[112:113], v[26:27], s[22:23], v[154:155]
	v_fma_f64 v[154:155], v[190:191], s[24:25], v[114:115]
	;; [unrolled: 1-line block ×3, first 2 shown]
	v_fma_f64 v[114:115], v[190:191], s[24:25], -v[114:115]
	v_add_f64_e32 v[210:211], v[18:19], v[212:213]
	v_add_f64_e64 v[18:19], v[18:19], -v[212:213]
	v_mul_f64_e32 v[212:213], s[22:23], v[60:61]
	v_mul_f64_e32 v[214:215], s[10:11], v[20:21]
	v_add_f64_e32 v[48:49], v[176:177], v[48:49]
	v_add_f64_e32 v[156:157], v[156:157], v[170:171]
	;; [unrolled: 1-line block ×4, first 2 shown]
	v_fma_f64 v[34:35], v[190:191], s[8:9], v[188:189]
	v_fma_f64 v[184:185], v[190:191], s[8:9], -v[188:189]
	v_fma_f64 v[186:187], v[26:27], s[54:55], v[192:193]
	v_fma_f64 v[188:189], v[26:27], s[46:47], v[204:205]
	v_add_f64_e32 v[24:25], v[24:25], v[158:159]
	v_mul_f64_e32 v[158:159], s[16:17], v[20:21]
	v_add_f64_e32 v[170:171], v[178:179], v[52:53]
	v_fma_f64 v[178:179], v[26:27], s[18:19], v[192:193]
	v_add_f64_e32 v[2:3], v[182:183], v[2:3]
	v_fma_f64 v[182:183], v[190:191], s[12:13], v[202:203]
	v_add_f64_e32 v[16:17], v[30:31], v[16:17]
	v_add_f64_e32 v[30:31], v[172:173], v[40:41]
	v_mul_f64_e32 v[172:173], s[24:25], v[20:21]
	v_add_f64_e32 v[164:165], v[196:197], v[164:165]
	v_fma_f64 v[196:197], v[190:191], s[16:17], v[36:37]
	v_mul_f64_e32 v[40:41], s[50:51], v[60:61]
	v_fma_f64 v[52:53], v[26:27], s[38:39], v[162:163]
	v_add_f64_e32 v[152:153], v[194:195], v[152:153]
	v_add_f64_e32 v[4:5], v[198:199], v[4:5]
	v_fma_f64 v[192:193], v[190:191], s[12:13], -v[202:203]
	v_fma_f64 v[194:195], v[26:27], s[40:41], v[204:205]
	v_fma_f64 v[198:199], v[26:27], s[36:37], v[32:33]
	v_add_f64_e32 v[202:203], v[42:43], v[22:23]
	v_add_f64_e32 v[50:51], v[112:113], v[50:51]
	;; [unrolled: 1-line block ×3, first 2 shown]
	v_fma_f64 v[22:23], v[190:191], s[16:17], -v[36:37]
	v_fma_f64 v[26:27], v[26:27], s[50:51], v[32:33]
	v_add_f64_e32 v[154:155], v[200:201], v[44:45]
	v_mul_f64_e32 v[190:191], s[14:15], v[20:21]
	v_mul_f64_e32 v[162:163], s[26:27], v[60:61]
	;; [unrolled: 1-line block ×3, first 2 shown]
	v_add_f64_e32 v[6:7], v[206:207], v[6:7]
	v_add_f64_e32 v[114:115], v[114:115], v[28:29]
	;; [unrolled: 1-line block ×3, first 2 shown]
	v_mul_f64_e32 v[208:209], s[30:31], v[60:61]
	v_fma_f64 v[32:33], v[210:211], s[10:11], v[212:213]
	v_fma_f64 v[36:37], v[18:19], s[48:49], v[214:215]
	v_fma_f64 v[42:43], v[210:211], s[10:11], -v[212:213]
	v_fma_f64 v[44:45], v[18:19], s[22:23], v[214:215]
	v_mul_f64_e32 v[212:213], s[2:3], v[20:21]
	v_mul_f64_e32 v[214:215], s[12:13], v[20:21]
	v_add_f64_e32 v[168:169], v[186:187], v[168:169]
	v_mul_f64_e32 v[186:187], s[8:9], v[20:21]
	v_add_f64_e32 v[188:189], v[188:189], v[180:181]
	v_mul_f64_e32 v[180:181], s[34:35], v[20:21]
	v_dual_mov_b32 v20, v245 :: v_dual_mov_b32 v21, v246
	v_fma_f64 v[204:205], v[18:19], s[36:37], v[158:159]
	v_add_f64_e32 v[58:59], v[178:179], v[58:59]
	v_mul_f64_e32 v[178:179], s[40:41], v[60:61]
	v_add_f64_e32 v[174:175], v[182:183], v[174:175]
	v_fma_f64 v[206:207], v[18:19], s[38:39], v[172:173]
	v_add_f64_e32 v[196:197], v[196:197], v[146:147]
	v_fma_f64 v[172:173], v[18:19], s[26:27], v[172:173]
	v_fma_f64 v[200:201], v[210:211], s[16:17], v[40:41]
	v_fma_f64 v[28:29], v[210:211], s[16:17], -v[40:41]
	v_fma_f64 v[40:41], v[18:19], s[50:51], v[158:159]
	v_add_f64_e32 v[158:159], v[52:53], v[46:47]
	v_add_f64_e32 v[54:55], v[34:35], v[54:55]
	;; [unrolled: 1-line block ×3, first 2 shown]
	v_mul_f64_e32 v[184:185], s[18:19], v[60:61]
	v_mul_f64_e32 v[60:61], s[52:53], v[60:61]
	v_add_f64_e32 v[148:149], v[198:199], v[148:149]
	v_add_f64_e32 v[0:1], v[22:23], v[0:1]
	;; [unrolled: 1-line block ×5, first 2 shown]
	v_fma_f64 v[46:47], v[210:211], s[24:25], v[162:163]
	v_fma_f64 v[162:163], v[210:211], s[24:25], -v[162:163]
	v_add_f64_e32 v[182:183], v[12:13], v[20:21]
	v_add_f64_e64 v[146:147], v[12:13], -v[20:21]
	v_dual_mov_b32 v12, v241 :: v_dual_mov_b32 v13, v242
	v_add_f64_e32 v[24:25], v[32:33], v[24:25]
	v_add_f64_e32 v[26:27], v[36:37], v[156:157]
	v_fma_f64 v[36:37], v[210:211], s[14:15], v[38:39]
	v_add_f64_e32 v[52:53], v[44:45], v[30:31]
	v_dual_mov_b32 v30, v243 :: v_dual_mov_b32 v31, v244
	v_add_f64_e32 v[34:35], v[42:43], v[16:17]
	v_fma_f64 v[16:17], v[18:19], s[20:21], v[190:191]
	v_fma_f64 v[156:157], v[18:19], s[42:43], v[212:213]
	v_fma_f64 v[38:39], v[210:211], s[14:15], -v[38:39]
	v_add_f64_e64 v[235:236], v[12:13], -v[30:31]
	v_add_f64_e32 v[233:234], v[12:13], v[30:31]
	v_add_f64_e32 v[20:21], v[204:205], v[170:171]
	v_fma_f64 v[170:171], v[210:211], s[12:13], v[178:179]
	v_fma_f64 v[178:179], v[210:211], s[12:13], -v[178:179]
	v_add_f64_e32 v[30:31], v[172:173], v[4:5]
	v_add_f64_e32 v[32:33], v[200:201], v[48:49]
	;; [unrolled: 1-line block ×4, first 2 shown]
	v_fma_f64 v[48:49], v[18:19], s[28:29], v[190:191]
	v_add_f64_e32 v[28:29], v[206:207], v[164:165]
	v_fma_f64 v[164:165], v[210:211], s[2:3], -v[208:209]
	v_fma_f64 v[166:167], v[18:19], s[30:31], v[212:213]
	v_fma_f64 v[176:177], v[18:19], s[46:47], v[214:215]
	;; [unrolled: 1-line block ×5, first 2 shown]
	v_fma_f64 v[204:205], v[210:211], s[8:9], -v[184:185]
	v_fma_f64 v[186:187], v[18:19], s[18:19], v[186:187]
	v_add_f64_e32 v[40:41], v[46:47], v[152:153]
	v_fma_f64 v[152:153], v[210:211], s[2:3], v[208:209]
	v_fma_f64 v[206:207], v[210:211], s[34:35], v[60:61]
	v_fma_f64 v[208:209], v[18:19], s[44:45], v[180:181]
	v_fma_f64 v[18:19], v[18:19], s[52:53], v[180:181]
	v_add_f64_e32 v[44:45], v[162:163], v[2:3]
	v_fma_f64 v[60:61], v[210:211], s[34:35], -v[60:61]
	v_mul_f64_e32 v[237:238], s[12:13], v[182:183]
	v_mul_f64_e32 v[4:5], s[22:23], v[146:147]
	;; [unrolled: 1-line block ×12, first 2 shown]
	v_add_f64_e32 v[36:37], v[36:37], v[6:7]
	v_mul_f64_e32 v[6:7], s[18:19], v[146:147]
	v_add_f64_e32 v[46:47], v[16:17], v[10:11]
	v_mul_f64_e32 v[16:17], s[14:15], v[182:183]
	;; [unrolled: 2-line block ×3, first 2 shown]
	v_add_f64_e32 v[202:203], v[38:39], v[202:203]
	v_add_f64_e32 v[184:185], v[170:171], v[54:55]
	;; [unrolled: 1-line block ×16, first 2 shown]
	v_mul_f64_e32 v[112:113], s[38:39], v[146:147]
	v_add_f64_e32 v[146:147], v[186:187], v[150:151]
	v_add_f64_e32 v[152:153], v[60:61], v[0:1]
	;; [unrolled: 1-line block ×4, first 2 shown]
	v_fma_f64 v[54:55], v[235:236], s[40:41], v[237:238]
	v_fma_f64 v[214:215], v[233:234], s[10:11], v[4:5]
	v_fma_f64 v[212:213], v[233:234], s[10:11], -v[4:5]
	scratch_load_b64 v[4:5], off, off offset:8 th:TH_LOAD_LU ; 8-byte Folded Reload
	global_wb scope:SCOPE_SE
	s_wait_loadcnt 0x0
	s_wait_storecnt 0x0
	s_barrier_signal -1
	s_barrier_wait -1
	global_inv scope:SCOPE_SE
	v_fma_f64 v[226:227], v[233:234], s[12:13], v[210:211]
	v_fma_f64 v[222:223], v[235:236], s[46:47], v[237:238]
	v_fma_f64 v[224:225], v[233:234], s[12:13], -v[210:211]
	v_fma_f64 v[220:221], v[233:234], s[2:3], v[2:3]
	v_fma_f64 v[216:217], v[235:236], s[30:31], v[239:240]
	v_fma_f64 v[218:219], v[233:234], s[2:3], -v[2:3]
	v_fma_f64 v[210:211], v[235:236], s[48:49], v[241:242]
	v_fma_f64 v[204:205], v[235:236], s[54:55], v[243:244]
	;; [unrolled: 1-line block ×8, first 2 shown]
	v_fma_f64 v[176:177], v[233:234], s[34:35], -v[249:250]
	v_fma_f64 v[150:151], v[235:236], s[52:53], v[253:254]
	v_fma_f64 v[188:189], v[233:234], s[16:17], -v[245:246]
	v_fma_f64 v[148:149], v[235:236], s[50:51], v[247:248]
	v_fma_f64 v[60:61], v[235:236], s[22:23], v[241:242]
	;; [unrolled: 1-line block ×3, first 2 shown]
	v_add_f64_e32 v[2:3], v[142:143], v[116:117]
	v_fma_f64 v[208:209], v[233:234], s[8:9], v[6:7]
	v_fma_f64 v[206:207], v[233:234], s[8:9], -v[6:7]
	v_fma_f64 v[200:201], v[233:234], s[14:15], v[10:11]
	v_fma_f64 v[196:197], v[235:236], s[28:29], v[16:17]
	v_fma_f64 v[198:199], v[233:234], s[14:15], -v[10:11]
	v_fma_f64 v[144:145], v[235:236], s[20:21], v[16:17]
	v_add_f64_e32 v[16:17], v[120:121], v[64:65]
	v_fma_f64 v[166:167], v[233:234], s[24:25], v[112:113]
	v_fma_f64 v[156:157], v[233:234], s[24:25], -v[112:113]
	v_fma_f64 v[112:113], v[235:236], s[18:19], v[243:244]
	v_add_f64_e32 v[6:7], v[54:55], v[52:53]
	s_clause 0x1
	scratch_load_b32 v52, off, off offset:1304 th:TH_LOAD_LU
	scratch_load_b128 v[12:15], off, off offset:1320 th:TH_LOAD_LU
	v_add_f64_e32 v[40:41], v[214:215], v[40:41]
	v_add_f64_e32 v[24:25], v[226:227], v[24:25]
	;; [unrolled: 1-line block ×32, first 2 shown]
	s_wait_loadcnt 0x0
	ds_store_b128 v52, v[12:15]
	ds_store_b128 v52, v[72:75] offset:112
	ds_store_b128 v52, v[80:83] offset:224
	;; [unrolled: 1-line block ×16, first 2 shown]
	ds_store_b128 v255, v[8:11]
	ds_store_b128 v255, v[24:27] offset:112
	ds_store_b128 v255, v[32:35] offset:224
	;; [unrolled: 1-line block ×16, first 2 shown]
	s_and_saveexec_b32 s33, vcc_lo
	s_cbranch_execz .LBB0_9
; %bb.8:
	s_clause 0x1
	scratch_load_b128 v[4:7], off, off offset:2144 th:TH_LOAD_LU
	scratch_load_b128 v[8:11], off, off offset:64 th:TH_LOAD_LU
	v_mov_b32_e32 v255, v230
	s_wait_loadcnt 0x0
	v_mul_f64_e32 v[0:1], v[6:7], v[10:11]
	v_mul_f64_e32 v[2:3], v[6:7], v[8:9]
	s_delay_alu instid0(VALU_DEP_2) | instskip(NEXT) | instid1(VALU_DEP_2)
	v_fma_f64 v[0:1], v[4:5], v[8:9], v[0:1]
	v_fma_f64 v[2:3], v[4:5], v[10:11], -v[2:3]
	s_clause 0x1
	scratch_load_b128 v[6:9], off, off offset:2304 th:TH_LOAD_LU
	scratch_load_b128 v[10:13], off, off offset:96 th:TH_LOAD_LU
	v_add_f64_e32 v[148:149], v[68:69], v[0:1]
	v_add_f64_e32 v[146:147], v[70:71], v[2:3]
	s_wait_loadcnt 0x0
	v_mul_f64_e32 v[4:5], v[8:9], v[12:13]
	s_delay_alu instid0(VALU_DEP_1) | instskip(SKIP_1) | instid1(VALU_DEP_2)
	v_fma_f64 v[28:29], v[6:7], v[10:11], v[4:5]
	v_mul_f64_e32 v[4:5], v[8:9], v[10:11]
	v_add_f64_e32 v[114:115], v[0:1], v[28:29]
	s_delay_alu instid0(VALU_DEP_2)
	v_fma_f64 v[80:81], v[6:7], v[12:13], -v[4:5]
	s_clause 0x1
	scratch_load_b128 v[6:9], off, off offset:2208 th:TH_LOAD_LU
	scratch_load_b128 v[10:13], off, off offset:240 th:TH_LOAD_LU
	s_wait_loadcnt 0x0
	v_mul_f64_e32 v[4:5], v[8:9], v[12:13]
	s_delay_alu instid0(VALU_DEP_1) | instskip(SKIP_1) | instid1(VALU_DEP_1)
	v_fma_f64 v[164:165], v[6:7], v[10:11], v[4:5]
	v_mul_f64_e32 v[4:5], v[8:9], v[10:11]
	v_fma_f64 v[210:211], v[6:7], v[12:13], -v[4:5]
	s_clause 0x1
	scratch_load_b128 v[6:9], off, off offset:2240 th:TH_LOAD_LU
	scratch_load_b128 v[10:13], off, off offset:256 th:TH_LOAD_LU
	s_wait_loadcnt 0x0
	v_mul_f64_e32 v[4:5], v[8:9], v[12:13]
	s_delay_alu instid0(VALU_DEP_1) | instskip(SKIP_1) | instid1(VALU_DEP_1)
	v_fma_f64 v[166:167], v[6:7], v[10:11], v[4:5]
	v_mul_f64_e32 v[4:5], v[8:9], v[10:11]
	;; [unrolled: 9-line block ×6, first 2 shown]
	v_fma_f64 v[38:39], v[6:7], v[12:13], -v[4:5]
	s_clause 0x1
	scratch_load_b128 v[10:13], off, off offset:2160 th:TH_LOAD_LU
	scratch_load_b128 v[16:19], off, off offset:128 th:TH_LOAD_LU
	s_wait_loadcnt 0x0
	v_mul_f64_e32 v[4:5], v[12:13], v[18:19]
	v_mul_f64_e32 v[6:7], v[12:13], v[16:17]
	s_clause 0x1
	scratch_load_b128 v[12:15], off, off offset:2224 th:TH_LOAD_LU
	scratch_load_b128 v[40:43], off, off offset:160 th:TH_LOAD_LU
	v_fma_f64 v[196:197], v[10:11], v[16:17], v[4:5]
	v_fma_f64 v[198:199], v[10:11], v[18:19], -v[6:7]
	s_clause 0x3
	scratch_load_b128 v[16:19], off, off offset:2128 th:TH_LOAD_LU
	scratch_load_b128 v[20:23], off, off offset:112 th:TH_LOAD_LU
	;; [unrolled: 1-line block ×4, first 2 shown]
	v_add_f64_e64 v[6:7], v[0:1], -v[28:29]
	s_delay_alu instid0(VALU_DEP_1)
	v_mul_f64_e32 v[82:83], s[20:21], v[6:7]
	v_mul_f64_e32 v[88:89], s[36:37], v[6:7]
	;; [unrolled: 1-line block ×3, first 2 shown]
	s_wait_loadcnt 0x4
	v_mul_f64_e32 v[8:9], v[14:15], v[42:43]
	v_mul_f64_e32 v[4:5], v[14:15], v[40:41]
	s_delay_alu instid0(VALU_DEP_2) | instskip(NEXT) | instid1(VALU_DEP_2)
	v_fma_f64 v[44:45], v[12:13], v[40:41], v[8:9]
	v_fma_f64 v[46:47], v[12:13], v[42:43], -v[4:5]
	s_clause 0x1
	scratch_load_b128 v[12:15], off, off offset:2112 th:TH_LOAD_LU
	scratch_load_b128 v[72:75], off, off offset:80 th:TH_LOAD_LU
	s_wait_loadcnt 0x4
	v_mul_f64_e32 v[10:11], v[18:19], v[22:23]
	v_mul_f64_e32 v[48:49], v[18:19], v[20:21]
	s_wait_loadcnt 0x2
	v_mul_f64_e32 v[50:51], v[26:27], v[62:63]
	v_mul_f64_e32 v[4:5], v[26:27], v[60:61]
	s_delay_alu instid0(VALU_DEP_4) | instskip(NEXT) | instid1(VALU_DEP_4)
	v_fma_f64 v[40:41], v[16:17], v[20:21], v[10:11]
	v_fma_f64 v[192:193], v[16:17], v[22:23], -v[48:49]
	s_delay_alu instid0(VALU_DEP_4) | instskip(NEXT) | instid1(VALU_DEP_4)
	v_fma_f64 v[26:27], v[24:25], v[60:61], v[50:51]
	v_fma_f64 v[24:25], v[24:25], v[62:63], -v[4:5]
	v_add_f64_e64 v[4:5], v[2:3], -v[80:81]
	v_dual_mov_b32 v50, v198 :: v_dual_mov_b32 v51, v199
	s_delay_alu instid0(VALU_DEP_2)
	v_mul_f64_e32 v[100:101], s[20:21], v[4:5]
	v_mul_f64_e32 v[102:103], s[52:53], v[4:5]
	v_mul_f64_e32 v[104:105], s[26:27], v[4:5]
	v_mul_f64_e32 v[106:107], s[36:37], v[4:5]
	v_mul_f64_e32 v[112:113], s[54:55], v[4:5]
	v_fma_f64 v[122:123], v[114:115], s[14:15], v[100:101]
	v_fma_f64 v[124:125], v[114:115], s[34:35], -v[102:103]
	v_fma_f64 v[128:129], v[114:115], s[34:35], v[102:103]
	v_fma_f64 v[130:131], v[114:115], s[24:25], -v[104:105]
	v_fma_f64 v[120:121], v[114:115], s[14:15], -v[100:101]
	v_fma_f64 v[132:133], v[114:115], s[24:25], v[104:105]
	v_fma_f64 v[134:135], v[114:115], s[16:17], v[106:107]
	v_fma_f64 v[136:137], v[114:115], s[16:17], -v[106:107]
	v_fma_f64 v[138:139], v[114:115], s[8:9], v[112:113]
	v_fma_f64 v[140:141], v[114:115], s[8:9], -v[112:113]
	v_dual_mov_b32 v101, v41 :: v_dual_mov_b32 v100, v40
	v_dual_mov_b32 v113, v25 :: v_dual_mov_b32 v112, v24
	;; [unrolled: 1-line block ×10, first 2 shown]
	v_add_f64_e32 v[180:181], v[68:69], v[120:121]
	v_add_f64_e32 v[186:187], v[68:69], v[138:139]
	;; [unrolled: 1-line block ×4, first 2 shown]
	s_wait_loadcnt 0x0
	v_mul_f64_e32 v[56:57], v[14:15], v[74:75]
	v_mul_f64_e32 v[58:59], v[14:15], v[72:73]
	s_clause 0x1
	scratch_load_b128 v[14:17], off, off offset:2096 th:TH_LOAD_LU
	scratch_load_b128 v[84:87], off, off offset:48 th:TH_LOAD_LU
	s_wait_loadcnt 0x0
	v_mul_f64_e32 v[64:65], v[16:17], v[86:87]
	v_mul_f64_e32 v[66:67], v[16:17], v[84:85]
	s_clause 0x3
	scratch_load_b128 v[16:19], off, off offset:2064 th:TH_LOAD_LU
	scratch_load_b128 v[52:55], off, off offset:16 th:TH_LOAD_LU
	;; [unrolled: 1-line block ×4, first 2 shown]
	scratch_store_b64 off, v[80:81], off offset:8 ; 8-byte Folded Spill
	v_fma_f64 v[48:49], v[14:15], v[84:85], v[64:65]
	v_mul_f64_e32 v[84:85], s[52:53], v[6:7]
	v_fma_f64 v[42:43], v[14:15], v[86:87], -v[66:67]
	v_mul_f64_e32 v[86:87], s[26:27], v[6:7]
	s_wait_loadcnt 0x2
	v_mul_f64_e32 v[60:61], v[18:19], v[52:53]
	s_wait_loadcnt 0x0
	v_mul_f64_e32 v[10:11], v[22:23], v[78:79]
	v_mul_f64_e32 v[62:63], v[22:23], v[76:77]
	v_fma_f64 v[22:23], v[12:13], v[72:73], v[56:57]
	v_fma_f64 v[12:13], v[12:13], v[74:75], -v[58:59]
	v_add_f64_e32 v[72:73], v[2:3], v[80:81]
	v_mul_f64_e32 v[74:75], s[40:41], v[6:7]
	v_mul_f64_e32 v[80:81], s[22:23], v[6:7]
	;; [unrolled: 1-line block ×4, first 2 shown]
	v_fma_f64 v[96:97], v[16:17], v[54:55], -v[60:61]
	v_fma_f64 v[76:77], v[20:21], v[76:77], v[10:11]
	v_fma_f64 v[78:79], v[20:21], v[78:79], -v[62:63]
	v_add_f64_e64 v[156:157], v[22:23], -v[48:49]
	v_add_f64_e32 v[144:145], v[22:23], v[48:49]
	v_fma_f64 v[94:95], v[72:73], s[34:35], v[84:85]
	v_fma_f64 v[10:11], v[72:73], s[12:13], v[74:75]
	v_fma_f64 v[60:61], v[72:73], s[12:13], -v[74:75]
	v_fma_f64 v[62:63], v[72:73], s[10:11], v[80:81]
	v_fma_f64 v[74:75], v[72:73], s[10:11], -v[80:81]
	;; [unrolled: 2-line block ×3, first 2 shown]
	v_fma_f64 v[90:91], v[16:17], v[52:53], v[8:9]
	v_mul_f64_e32 v[8:9], s[40:41], v[4:5]
	v_fma_f64 v[84:85], v[72:73], s[34:35], -v[84:85]
	v_fma_f64 v[98:99], v[72:73], s[24:25], v[86:87]
	v_fma_f64 v[86:87], v[72:73], s[24:25], -v[86:87]
	v_fma_f64 v[108:109], v[72:73], s[16:17], -v[88:89]
	v_fma_f64 v[110:111], v[72:73], s[8:9], -v[92:93]
	v_fma_f64 v[126:127], v[72:73], s[2:3], -v[6:7]
	v_fma_f64 v[88:89], v[72:73], s[16:17], v[88:89]
	v_fma_f64 v[92:93], v[72:73], s[8:9], v[92:93]
	v_fma_f64 v[6:7], v[72:73], s[2:3], v[6:7]
	v_mul_f64_e32 v[72:73], s[22:23], v[4:5]
	v_mul_f64_e32 v[4:5], s[30:31], v[4:5]
	v_dual_mov_b32 v55, v39 :: v_dual_mov_b32 v54, v38
	v_dual_mov_b32 v39, v37 :: v_dual_mov_b32 v38, v36
	;; [unrolled: 1-line block ×3, first 2 shown]
	s_delay_alu instid0(VALU_DEP_1)
	v_add_f64_e32 v[164:165], v[16:17], v[24:25]
	v_add_f64_e32 v[158:159], v[96:97], v[78:79]
	v_add_f64_e64 v[160:161], v[96:97], -v[78:79]
	v_mul_f64_e32 v[188:189], s[22:23], v[156:157]
	v_mul_f64_e32 v[220:221], s[36:37], v[156:157]
	v_add_f64_e32 v[0:1], v[70:71], v[10:11]
	v_add_f64_e32 v[10:11], v[70:71], v[60:61]
	;; [unrolled: 1-line block ×6, first 2 shown]
	v_add_f64_e64 v[162:163], v[90:91], -v[76:77]
	v_fma_f64 v[116:117], v[114:115], s[12:13], -v[8:9]
	v_fma_f64 v[8:9], v[114:115], s[12:13], v[8:9]
	v_add_f64_e32 v[154:155], v[90:91], v[76:77]
	v_add_f64_e32 v[120:121], v[70:71], v[86:87]
	v_add_f64_e64 v[86:87], v[40:41], -v[44:45]
	v_add_f64_e32 v[168:169], v[70:71], v[110:111]
	v_add_f64_e32 v[182:183], v[70:71], v[126:127]
	v_dual_mov_b32 v111, v13 :: v_dual_mov_b32 v110, v12
	v_dual_mov_b32 v12, v196 :: v_dual_mov_b32 v13, v197
	v_fma_f64 v[142:143], v[114:115], s[2:3], v[4:5]
	v_fma_f64 v[4:5], v[114:115], s[2:3], -v[4:5]
	s_delay_alu instid0(VALU_DEP_4)
	v_add_f64_e32 v[150:151], v[110:111], v[42:43]
	v_add_f64_e64 v[152:153], v[110:111], -v[42:43]
	v_fma_f64 v[118:119], v[114:115], s[10:11], -v[72:73]
	v_fma_f64 v[72:73], v[114:115], s[10:11], v[72:73]
	v_dual_mov_b32 v115, v27 :: v_dual_mov_b32 v114, v26
	v_add_f64_e32 v[82:83], v[36:37], v[54:55]
	v_add_f64_e32 v[80:81], v[40:41], v[44:45]
	v_dual_mov_b32 v26, v212 :: v_dual_mov_b32 v27, v213
	v_add_f64_e64 v[62:63], v[16:17], -v[24:25]
	v_dual_mov_b32 v47, v13 :: v_dual_mov_b32 v46, v12
	v_add_f64_e32 v[90:91], v[148:149], v[90:91]
	v_mul_f64_e32 v[218:219], s[54:55], v[160:161]
	v_mul_f64_e32 v[249:250], s[26:27], v[160:161]
	scratch_store_b64 off, v[14:15], off offset:16 ; 8-byte Folded Spill
	v_add_f64_e32 v[14:15], v[68:69], v[122:123]
	v_add_f64_e32 v[122:123], v[70:71], v[6:7]
	;; [unrolled: 1-line block ×6, first 2 shown]
	v_mul_f64_e32 v[200:201], s[50:51], v[86:87]
	v_mul_f64_e32 v[216:217], s[54:55], v[162:163]
	;; [unrolled: 1-line block ×4, first 2 shown]
	v_add_f64_e32 v[184:185], v[68:69], v[142:143]
	v_add_f64_e32 v[126:127], v[68:69], v[4:5]
	v_mul_f64_e32 v[4:5], s[42:43], v[162:163]
	v_mul_f64_e32 v[190:191], s[22:23], v[152:153]
	v_add_f64_e64 v[142:143], v[100:101], -v[114:115]
	v_add_f64_e32 v[176:177], v[68:69], v[72:73]
	v_add_f64_e64 v[72:73], v[32:33], -v[34:35]
	v_add_f64_e32 v[172:173], v[68:69], v[118:119]
	v_add_f64_e32 v[118:119], v[68:69], v[136:137]
	v_mul_f64_e32 v[222:223], s[36:37], v[152:153]
	v_mul_f64_e32 v[253:254], s[20:21], v[152:153]
	;; [unrolled: 1-line block ×4, first 2 shown]
	v_add_f64_e32 v[22:23], v[90:91], v[22:23]
	v_mul_f64_e32 v[90:91], s[18:19], v[156:157]
	scratch_store_b64 off, v[14:15], off offset:32 ; 8-byte Folded Spill
	v_add_f64_e32 v[14:15], v[70:71], v[94:95]
	v_add_f64_e64 v[94:95], v[50:51], -v[104:105]
	v_fma_f64 v[6:7], v[158:159], s[2:3], v[4:5]
	v_fma_f64 v[4:5], v[158:159], s[2:3], -v[4:5]
	v_mul_f64_e32 v[192:193], s[18:19], v[142:143]
	v_mul_f64_e32 v[224:225], s[26:27], v[142:143]
	;; [unrolled: 1-line block ×4, first 2 shown]
	v_add_f64_e32 v[22:23], v[22:23], v[100:101]
	scratch_store_b64 off, v[14:15], off offset:48 ; 8-byte Folded Spill
	v_add_f64_e32 v[14:15], v[68:69], v[124:125]
	v_add_f64_e32 v[124:125], v[70:71], v[108:109]
	;; [unrolled: 1-line block ×3, first 2 shown]
	v_mul_f64_e32 v[198:199], s[20:21], v[94:95]
	v_mul_f64_e32 v[233:234], s[52:53], v[94:95]
	;; [unrolled: 1-line block ×3, first 2 shown]
	v_add_f64_e32 v[0:1], v[6:7], v[0:1]
	v_mul_f64_e32 v[6:7], s[42:43], v[160:161]
	v_add_f64_e32 v[4:5], v[4:5], v[10:11]
	v_add_f64_e32 v[22:23], v[22:23], v[46:47]
	scratch_store_b64 off, v[14:15], off offset:64 ; 8-byte Folded Spill
	v_add_f64_e32 v[14:15], v[70:71], v[84:85]
	v_add_f64_e64 v[84:85], v[36:37], -v[54:55]
	v_dual_mov_b32 v36, v204 :: v_dual_mov_b32 v37, v205
	s_delay_alu instid0(VALU_DEP_1)
	v_add_f64_e64 v[74:75], v[206:207], -v[36:37]
	v_fma_f64 v[60:61], v[154:155], s[2:3], -v[6:7]
	v_fma_f64 v[6:7], v[154:155], s[2:3], v[6:7]
	v_add_f64_e32 v[22:23], v[22:23], v[40:41]
	v_mul_f64_e32 v[40:41], s[40:41], v[160:161]
	scratch_store_b64 off, v[14:15], off offset:80 ; 8-byte Folded Spill
	v_add_f64_e32 v[14:15], v[68:69], v[128:129]
	v_add_f64_e32 v[128:129], v[70:71], v[88:89]
	;; [unrolled: 1-line block ×3, first 2 shown]
	v_mul_f64_e32 v[202:203], s[50:51], v[84:85]
	v_mul_f64_e32 v[237:238], s[20:21], v[84:85]
	;; [unrolled: 1-line block ×5, first 2 shown]
	v_add_f64_e32 v[2:3], v[60:61], v[2:3]
	v_add_f64_e32 v[6:7], v[6:7], v[8:9]
	v_fma_f64 v[8:9], v[150:151], s[10:11], -v[188:189]
	v_fma_f64 v[60:61], v[150:151], s[10:11], v[188:189]
	v_mul_f64_e32 v[188:189], s[50:51], v[162:163]
	v_add_f64_e32 v[22:23], v[22:23], v[30:31]
	scratch_store_b64 off, v[14:15], off offset:96 ; 8-byte Folded Spill
	v_add_f64_e32 v[14:15], v[70:71], v[98:99]
	v_add_f64_e64 v[98:99], v[12:13], -v[106:107]
	v_add_f64_e32 v[70:71], v[32:33], v[34:35]
	v_dual_mov_b32 v12, v16 :: v_dual_mov_b32 v13, v17
	v_mul_f64_e32 v[16:17], s[44:45], v[86:87]
	v_add_f64_e32 v[4:5], v[8:9], v[4:5]
	v_fma_f64 v[8:9], v[144:145], s[10:11], v[190:191]
	v_add_f64_e32 v[0:1], v[60:61], v[0:1]
	v_fma_f64 v[60:61], v[144:145], s[10:11], -v[190:191]
	v_add_f64_e32 v[22:23], v[22:23], v[12:13]
	scratch_store_b64 off, v[14:15], off offset:112 ; 8-byte Folded Spill
	v_add_f64_e32 v[14:15], v[68:69], v[130:131]
	v_mul_f64_e32 v[196:197], s[20:21], v[98:99]
	v_add_f64_e32 v[130:131], v[68:69], v[134:135]
	v_mul_f64_e32 v[228:229], s[52:53], v[98:99]
	v_add_f64_e32 v[6:7], v[8:9], v[6:7]
	v_fma_f64 v[8:9], v[140:141], s[8:9], -v[192:193]
	v_add_f64_e32 v[2:3], v[60:61], v[2:3]
	v_fma_f64 v[60:61], v[140:141], s[8:9], v[192:193]
	v_add_f64_e32 v[22:23], v[22:23], v[24:25]
	v_mul_f64_e32 v[24:25], s[20:21], v[162:163]
	scratch_store_b64 off, v[14:15], off offset:128 ; 8-byte Folded Spill
	v_add_f64_e32 v[14:15], v[68:69], v[132:133]
	v_add_f64_e64 v[132:133], v[102:103], -v[112:113]
	v_add_f64_e32 v[68:69], v[206:207], v[36:37]
	v_mul_f64_e32 v[206:207], s[52:53], v[72:73]
	v_add_f64_e32 v[4:5], v[8:9], v[4:5]
	v_add_f64_e32 v[0:1], v[60:61], v[0:1]
	;; [unrolled: 1-line block ×3, first 2 shown]
	v_fma_f64 v[36:37], v[158:159], s[8:9], v[216:217]
	scratch_store_b64 off, v[14:15], off offset:144 ; 8-byte Folded Spill
	v_mul_f64_e32 v[194:195], s[18:19], v[132:133]
	v_dual_mov_b32 v14, v210 :: v_dual_mov_b32 v15, v211
	v_mul_f64_e32 v[210:211], s[38:39], v[62:63]
	v_mul_f64_e32 v[226:227], s[26:27], v[132:133]
	s_delay_alu instid0(VALU_DEP_3)
	v_add_f64_e64 v[166:167], v[14:15], -v[26:27]
	v_add_f64_e32 v[22:23], v[22:23], v[44:45]
	v_add_f64_e32 v[36:37], v[36:37], v[122:123]
	v_fma_f64 v[8:9], v[108:109], s[8:9], v[194:195]
	v_fma_f64 v[60:61], v[108:109], s[8:9], -v[194:195]
	v_mul_f64_e32 v[212:213], s[38:39], v[166:167]
	v_mul_f64_e32 v[214:215], s[50:51], v[166:167]
	;; [unrolled: 1-line block ×3, first 2 shown]
	v_add_f64_e32 v[22:23], v[22:23], v[106:107]
	v_add_f64_e32 v[6:7], v[8:9], v[6:7]
	v_fma_f64 v[8:9], v[92:93], s[14:15], -v[196:197]
	v_add_f64_e32 v[2:3], v[60:61], v[2:3]
	v_fma_f64 v[60:61], v[92:93], s[14:15], v[196:197]
	v_fma_f64 v[10:11], v[164:165], s[24:25], v[212:213]
	v_add_f64_e32 v[22:23], v[22:23], v[114:115]
	v_add_f64_e32 v[4:5], v[8:9], v[4:5]
	v_fma_f64 v[8:9], v[88:89], s[14:15], v[198:199]
	v_add_f64_e32 v[0:1], v[60:61], v[0:1]
	v_fma_f64 v[60:61], v[88:89], s[14:15], -v[198:199]
	v_add_f64_e32 v[12:13], v[22:23], v[48:49]
	v_mul_f64_e32 v[22:23], s[40:41], v[162:163]
	v_fma_f64 v[48:49], v[154:155], s[12:13], -v[40:41]
	v_fma_f64 v[40:41], v[154:155], s[12:13], v[40:41]
	v_add_f64_e32 v[6:7], v[8:9], v[6:7]
	v_fma_f64 v[8:9], v[82:83], s[16:17], -v[200:201]
	v_add_f64_e32 v[2:3], v[60:61], v[2:3]
	v_fma_f64 v[60:61], v[82:83], s[16:17], v[200:201]
	v_add_f64_e32 v[12:13], v[12:13], v[76:77]
	v_fma_f64 v[30:31], v[158:159], s[12:13], v[22:23]
	v_fma_f64 v[76:77], v[154:155], s[24:25], -v[249:250]
	v_fma_f64 v[22:23], v[158:159], s[12:13], -v[22:23]
	v_add_f64_e32 v[4:5], v[8:9], v[4:5]
	v_fma_f64 v[8:9], v[80:81], s[16:17], v[202:203]
	v_add_f64_e32 v[0:1], v[60:61], v[0:1]
	v_fma_f64 v[60:61], v[80:81], s[16:17], -v[202:203]
	v_add_f64_e32 v[12:13], v[12:13], v[28:29]
	v_add_f64_e32 v[76:77], v[76:77], v[138:139]
	;; [unrolled: 1-line block ×3, first 2 shown]
	v_fma_f64 v[120:121], v[140:141], s[24:25], v[224:225]
	v_add_f64_e32 v[6:7], v[8:9], v[6:7]
	v_fma_f64 v[8:9], v[70:71], s[34:35], -v[204:205]
	v_add_f64_e32 v[2:3], v[60:61], v[2:3]
	v_fma_f64 v[60:61], v[70:71], s[34:35], v[204:205]
	s_delay_alu instid0(VALU_DEP_3) | instskip(SKIP_1) | instid1(VALU_DEP_3)
	v_add_f64_e32 v[4:5], v[8:9], v[4:5]
	v_fma_f64 v[8:9], v[68:69], s[34:35], v[206:207]
	v_add_f64_e32 v[0:1], v[60:61], v[0:1]
	v_fma_f64 v[60:61], v[68:69], s[34:35], -v[206:207]
	s_delay_alu instid0(VALU_DEP_3) | instskip(NEXT) | instid1(VALU_DEP_2)
	v_add_f64_e32 v[8:9], v[8:9], v[6:7]
	v_add_f64_e32 v[208:209], v[60:61], v[2:3]
	;; [unrolled: 1-line block ×3, first 2 shown]
	s_delay_alu instid0(VALU_DEP_3) | instskip(SKIP_2) | instid1(VALU_DEP_4)
	v_add_f64_e32 v[56:57], v[10:11], v[8:9]
	v_fma_f64 v[8:9], v[158:159], s[16:17], v[188:189]
	v_fma_f64 v[188:189], v[158:159], s[16:17], -v[188:189]
	v_fma_f64 v[2:3], v[60:61], s[24:25], v[210:211]
	v_fma_f64 v[6:7], v[60:61], s[24:25], -v[210:211]
	v_mul_f64_e32 v[210:211], s[52:53], v[62:63]
	v_add_f64_e32 v[8:9], v[8:9], v[170:171]
	v_mul_f64_e32 v[170:171], s[50:51], v[160:161]
	v_add_f64_e32 v[174:175], v[188:189], v[174:175]
	v_add_f64_e32 v[66:67], v[2:3], v[0:1]
	v_fma_f64 v[0:1], v[164:165], s[24:25], -v[212:213]
	v_mul_f64_e32 v[212:213], s[52:53], v[166:167]
	v_mul_f64_e32 v[188:189], s[44:45], v[162:163]
	v_add_f64_e32 v[58:59], v[6:7], v[4:5]
	v_mov_b32_e32 v4, v232
	v_dual_mov_b32 v232, v251 :: v_dual_mov_b32 v251, v231
	v_mul_f64_e32 v[230:231], s[40:41], v[142:143]
	v_fma_f64 v[10:11], v[154:155], s[16:17], -v[170:171]
	v_fma_f64 v[170:171], v[154:155], s[16:17], v[170:171]
	v_add_f64_e32 v[64:65], v[0:1], v[208:209]
	v_mul_f64_e32 v[0:1], s[40:41], v[132:133]
	s_delay_alu instid0(VALU_DEP_4)
	v_add_f64_e32 v[10:11], v[10:11], v[172:173]
	v_mul_f64_e32 v[172:173], s[26:27], v[156:157]
	v_add_f64_e32 v[170:171], v[170:171], v[176:177]
	v_fma_f64 v[176:177], v[164:165], s[34:35], v[212:213]
	v_fma_f64 v[2:3], v[108:109], s[12:13], v[0:1]
	v_fma_f64 v[0:1], v[108:109], s[12:13], -v[0:1]
	v_fma_f64 v[190:191], v[150:151], s[24:25], v[172:173]
	v_fma_f64 v[172:173], v[150:151], s[24:25], -v[172:173]
	s_delay_alu instid0(VALU_DEP_2) | instskip(SKIP_1) | instid1(VALU_DEP_3)
	v_add_f64_e32 v[8:9], v[190:191], v[8:9]
	v_mul_f64_e32 v[190:191], s[26:27], v[152:153]
	v_add_f64_e32 v[172:173], v[172:173], v[174:175]
	s_delay_alu instid0(VALU_DEP_2) | instskip(SKIP_2) | instid1(VALU_DEP_3)
	v_fma_f64 v[192:193], v[144:145], s[24:25], -v[190:191]
	v_fma_f64 v[174:175], v[144:145], s[24:25], v[190:191]
	v_mul_f64_e32 v[190:191], s[44:45], v[160:161]
	v_add_f64_e32 v[10:11], v[192:193], v[10:11]
	v_mul_f64_e32 v[192:193], s[28:29], v[142:143]
	s_delay_alu instid0(VALU_DEP_4) | instskip(NEXT) | instid1(VALU_DEP_4)
	v_add_f64_e32 v[170:171], v[174:175], v[170:171]
	v_fma_f64 v[44:45], v[154:155], s[34:35], v[190:191]
	s_delay_alu instid0(VALU_DEP_3) | instskip(SKIP_2) | instid1(VALU_DEP_3)
	v_fma_f64 v[194:195], v[140:141], s[14:15], v[192:193]
	v_fma_f64 v[174:175], v[140:141], s[14:15], -v[192:193]
	v_mul_f64_e32 v[192:193], s[30:31], v[156:157]
	v_add_f64_e32 v[8:9], v[194:195], v[8:9]
	v_mul_f64_e32 v[194:195], s[28:29], v[132:133]
	s_delay_alu instid0(VALU_DEP_4) | instskip(NEXT) | instid1(VALU_DEP_4)
	v_add_f64_e32 v[172:173], v[174:175], v[172:173]
	v_fma_f64 v[148:149], v[150:151], s[2:3], -v[192:193]
	s_delay_alu instid0(VALU_DEP_3) | instskip(SKIP_2) | instid1(VALU_DEP_3)
	v_fma_f64 v[196:197], v[108:109], s[14:15], -v[194:195]
	v_fma_f64 v[174:175], v[108:109], s[14:15], v[194:195]
	v_mul_f64_e32 v[194:195], s[30:31], v[152:153]
	v_add_f64_e32 v[10:11], v[196:197], v[10:11]
	v_mul_f64_e32 v[196:197], s[30:31], v[98:99]
	s_delay_alu instid0(VALU_DEP_4) | instskip(NEXT) | instid1(VALU_DEP_2)
	v_add_f64_e32 v[170:171], v[174:175], v[170:171]
	v_fma_f64 v[198:199], v[92:93], s[2:3], v[196:197]
	v_fma_f64 v[174:175], v[92:93], s[2:3], -v[196:197]
	v_mul_f64_e32 v[196:197], s[22:23], v[142:143]
	s_delay_alu instid0(VALU_DEP_3) | instskip(SKIP_1) | instid1(VALU_DEP_4)
	v_add_f64_e32 v[8:9], v[198:199], v[8:9]
	v_mul_f64_e32 v[198:199], s[30:31], v[94:95]
	v_add_f64_e32 v[172:173], v[174:175], v[172:173]
	s_delay_alu instid0(VALU_DEP_4) | instskip(NEXT) | instid1(VALU_DEP_3)
	v_fma_f64 v[106:107], v[140:141], s[10:11], -v[196:197]
	v_fma_f64 v[200:201], v[88:89], s[2:3], -v[198:199]
	v_fma_f64 v[174:175], v[88:89], s[2:3], v[198:199]
	v_mul_f64_e32 v[198:199], s[22:23], v[132:133]
	s_delay_alu instid0(VALU_DEP_3) | instskip(SKIP_1) | instid1(VALU_DEP_4)
	v_add_f64_e32 v[10:11], v[200:201], v[10:11]
	v_mul_f64_e32 v[200:201], s[40:41], v[86:87]
	v_add_f64_e32 v[170:171], v[174:175], v[170:171]
	s_delay_alu instid0(VALU_DEP_4) | instskip(NEXT) | instid1(VALU_DEP_3)
	v_fma_f64 v[122:123], v[108:109], s[10:11], v[198:199]
	v_fma_f64 v[202:203], v[82:83], s[12:13], v[200:201]
	v_fma_f64 v[174:175], v[82:83], s[12:13], -v[200:201]
	v_mul_f64_e32 v[200:201], s[38:39], v[98:99]
	s_delay_alu instid0(VALU_DEP_3) | instskip(SKIP_1) | instid1(VALU_DEP_4)
	v_add_f64_e32 v[8:9], v[202:203], v[8:9]
	v_mul_f64_e32 v[202:203], s[40:41], v[84:85]
	v_add_f64_e32 v[172:173], v[174:175], v[172:173]
	s_delay_alu instid0(VALU_DEP_2) | instskip(SKIP_2) | instid1(VALU_DEP_3)
	v_fma_f64 v[204:205], v[80:81], s[12:13], -v[202:203]
	v_fma_f64 v[174:175], v[80:81], s[12:13], v[202:203]
	v_mul_f64_e32 v[202:203], s[38:39], v[94:95]
	v_add_f64_e32 v[10:11], v[204:205], v[10:11]
	v_mul_f64_e32 v[204:205], s[18:19], v[74:75]
	s_delay_alu instid0(VALU_DEP_4) | instskip(NEXT) | instid1(VALU_DEP_2)
	v_add_f64_e32 v[170:171], v[174:175], v[170:171]
	v_fma_f64 v[206:207], v[70:71], s[8:9], v[204:205]
	v_fma_f64 v[174:175], v[70:71], s[8:9], -v[204:205]
	v_mul_f64_e32 v[204:205], s[54:55], v[86:87]
	s_delay_alu instid0(VALU_DEP_3) | instskip(SKIP_1) | instid1(VALU_DEP_4)
	v_add_f64_e32 v[8:9], v[206:207], v[8:9]
	v_mul_f64_e32 v[206:207], s[18:19], v[72:73]
	v_add_f64_e32 v[172:173], v[174:175], v[172:173]
	s_delay_alu instid0(VALU_DEP_2) | instskip(SKIP_2) | instid1(VALU_DEP_3)
	v_fma_f64 v[174:175], v[68:69], s[8:9], v[206:207]
	v_fma_f64 v[208:209], v[68:69], s[8:9], -v[206:207]
	v_mul_f64_e32 v[206:207], s[54:55], v[84:85]
	v_add_f64_e32 v[170:171], v[174:175], v[170:171]
	v_fma_f64 v[174:175], v[60:61], s[34:35], -v[210:211]
	s_delay_alu instid0(VALU_DEP_4)
	v_add_f64_e32 v[208:209], v[208:209], v[10:11]
	v_fma_f64 v[10:11], v[60:61], s[34:35], v[210:211]
	v_mul_f64_e32 v[210:211], s[40:41], v[72:73]
	v_add_f64_e32 v[170:171], v[176:177], v[170:171]
	v_add_f64_e32 v[172:173], v[174:175], v[172:173]
	v_fma_f64 v[174:175], v[158:159], s[34:35], v[188:189]
	v_fma_f64 v[176:177], v[154:155], s[34:35], -v[190:191]
	v_add_f64_e32 v[136:137], v[10:11], v[8:9]
	v_fma_f64 v[8:9], v[164:165], s[34:35], -v[212:213]
	v_mul_f64_e32 v[212:213], s[50:51], v[62:63]
	v_fma_f64 v[10:11], v[82:83], s[34:35], -v[16:17]
	v_add_f64_e32 v[174:175], v[174:175], v[178:179]
	v_fma_f64 v[178:179], v[150:151], s[2:3], v[192:193]
	v_add_f64_e32 v[176:177], v[176:177], v[180:181]
	v_add_f64_e32 v[134:135], v[8:9], v[208:209]
	v_mul_f64_e32 v[208:209], s[40:41], v[74:75]
	v_fma_f64 v[180:181], v[154:155], s[8:9], v[218:219]
	v_mul_f64_e32 v[8:9], s[48:49], v[98:99]
	v_add_f64_e32 v[174:175], v[178:179], v[174:175]
	v_fma_f64 v[178:179], v[144:145], s[2:3], -v[194:195]
	s_delay_alu instid0(VALU_DEP_4) | instskip(NEXT) | instid1(VALU_DEP_4)
	v_add_f64_e32 v[180:181], v[180:181], v[184:185]
	v_fma_f64 v[6:7], v[92:93], s[10:11], -v[8:9]
	s_delay_alu instid0(VALU_DEP_3) | instskip(SKIP_1) | instid1(VALU_DEP_1)
	v_add_f64_e32 v[176:177], v[178:179], v[176:177]
	v_fma_f64 v[178:179], v[140:141], s[10:11], v[196:197]
	v_add_f64_e32 v[174:175], v[178:179], v[174:175]
	v_fma_f64 v[178:179], v[108:109], s[10:11], -v[198:199]
	s_delay_alu instid0(VALU_DEP_1) | instskip(SKIP_1) | instid1(VALU_DEP_1)
	v_add_f64_e32 v[176:177], v[178:179], v[176:177]
	v_fma_f64 v[178:179], v[92:93], s[24:25], v[200:201]
	v_add_f64_e32 v[174:175], v[178:179], v[174:175]
	v_fma_f64 v[178:179], v[88:89], s[24:25], -v[202:203]
	s_delay_alu instid0(VALU_DEP_1) | instskip(SKIP_1) | instid1(VALU_DEP_1)
	;; [unrolled: 5-line block ×4, first 2 shown]
	v_add_f64_e32 v[178:179], v[178:179], v[176:177]
	v_fma_f64 v[176:177], v[60:61], s[16:17], v[212:213]
	v_add_f64_e32 v[176:177], v[176:177], v[174:175]
	v_fma_f64 v[174:175], v[164:165], s[16:17], -v[214:215]
	s_delay_alu instid0(VALU_DEP_1) | instskip(SKIP_2) | instid1(VALU_DEP_2)
	v_add_f64_e32 v[174:175], v[174:175], v[178:179]
	v_fma_f64 v[178:179], v[158:159], s[8:9], -v[216:217]
	v_fma_f64 v[216:217], v[144:145], s[14:15], -v[253:254]
	v_add_f64_e32 v[178:179], v[178:179], v[182:183]
	v_fma_f64 v[182:183], v[150:151], s[16:17], -v[220:221]
	s_delay_alu instid0(VALU_DEP_3) | instskip(NEXT) | instid1(VALU_DEP_2)
	v_add_f64_e32 v[76:77], v[216:217], v[76:77]
	v_add_f64_e32 v[178:179], v[182:183], v[178:179]
	v_fma_f64 v[182:183], v[144:145], s[16:17], v[222:223]
	s_delay_alu instid0(VALU_DEP_3) | instskip(SKIP_1) | instid1(VALU_DEP_3)
	v_add_f64_e32 v[0:1], v[0:1], v[76:77]
	v_fma_f64 v[76:77], v[92:93], s[24:25], -v[200:201]
	v_add_f64_e32 v[180:181], v[182:183], v[180:181]
	v_fma_f64 v[182:183], v[140:141], s[24:25], -v[224:225]
	s_delay_alu instid0(VALU_DEP_1) | instskip(SKIP_1) | instid1(VALU_DEP_1)
	v_add_f64_e32 v[178:179], v[182:183], v[178:179]
	v_fma_f64 v[182:183], v[108:109], s[24:25], v[226:227]
	v_add_f64_e32 v[180:181], v[182:183], v[180:181]
	v_fma_f64 v[182:183], v[92:93], s[34:35], -v[228:229]
	s_delay_alu instid0(VALU_DEP_1) | instskip(SKIP_1) | instid1(VALU_DEP_1)
	v_add_f64_e32 v[178:179], v[182:183], v[178:179]
	v_fma_f64 v[182:183], v[88:89], s[34:35], v[233:234]
	;; [unrolled: 5-line block ×6, first 2 shown]
	v_add_f64_e32 v[182:183], v[182:183], v[186:187]
	v_mul_f64_e32 v[186:187], s[20:21], v[156:157]
	s_delay_alu instid0(VALU_DEP_1) | instskip(NEXT) | instid1(VALU_DEP_1)
	v_fma_f64 v[184:185], v[150:151], s[14:15], -v[186:187]
	v_add_f64_e32 v[168:169], v[184:185], v[168:169]
	v_fma_f64 v[184:185], v[144:145], s[14:15], v[253:254]
	s_delay_alu instid0(VALU_DEP_1) | instskip(SKIP_1) | instid1(VALU_DEP_2)
	v_add_f64_e32 v[182:183], v[184:185], v[182:183]
	v_fma_f64 v[184:185], v[140:141], s[12:13], -v[230:231]
	v_add_f64_e32 v[2:3], v[2:3], v[182:183]
	s_delay_alu instid0(VALU_DEP_2) | instskip(NEXT) | instid1(VALU_DEP_1)
	v_add_f64_e32 v[168:169], v[184:185], v[168:169]
	v_add_f64_e32 v[6:7], v[6:7], v[168:169]
	v_mul_f64_e32 v[168:169], s[48:49], v[94:95]
	s_delay_alu instid0(VALU_DEP_2) | instskip(NEXT) | instid1(VALU_DEP_2)
	v_add_f64_e32 v[6:7], v[10:11], v[6:7]
	v_fma_f64 v[182:183], v[88:89], s[10:11], v[168:169]
	v_mul_f64_e32 v[10:11], s[44:45], v[84:85]
	s_delay_alu instid0(VALU_DEP_2) | instskip(NEXT) | instid1(VALU_DEP_2)
	v_add_f64_e32 v[2:3], v[182:183], v[2:3]
	v_fma_f64 v[182:183], v[80:81], s[34:35], v[10:11]
	v_fma_f64 v[10:11], v[80:81], s[34:35], -v[10:11]
	s_delay_alu instid0(VALU_DEP_2) | instskip(SKIP_1) | instid1(VALU_DEP_1)
	v_add_f64_e32 v[2:3], v[182:183], v[2:3]
	v_fma_f64 v[182:183], v[70:71], s[16:17], -v[18:19]
	v_add_f64_e32 v[6:7], v[182:183], v[6:7]
	v_fma_f64 v[182:183], v[68:69], s[16:17], v[20:21]
	s_delay_alu instid0(VALU_DEP_1) | instskip(SKIP_1) | instid1(VALU_DEP_1)
	v_add_f64_e32 v[2:3], v[182:183], v[2:3]
	v_fma_f64 v[182:183], v[60:61], s[2:3], -v[52:53]
	v_add_f64_e32 v[184:185], v[182:183], v[6:7]
	v_mul_f64_e32 v[6:7], s[42:43], v[166:167]
	s_delay_alu instid0(VALU_DEP_1) | instskip(SKIP_1) | instid1(VALU_DEP_2)
	v_fma_f64 v[182:183], v[164:165], s[2:3], v[6:7]
	v_fma_f64 v[6:7], v[164:165], s[2:3], -v[6:7]
	v_add_f64_e32 v[182:183], v[182:183], v[2:3]
	v_add_f64_e32 v[2:3], v[146:147], v[96:97]
	v_mul_f64_e32 v[96:97], s[44:45], v[156:157]
	v_mul_f64_e32 v[146:147], s[46:47], v[156:157]
	s_delay_alu instid0(VALU_DEP_3) | instskip(NEXT) | instid1(VALU_DEP_3)
	v_add_f64_e32 v[2:3], v[2:3], v[110:111]
	v_fma_f64 v[156:157], v[150:151], s[34:35], v[96:97]
	v_fma_f64 v[96:97], v[150:151], s[34:35], -v[96:97]
	v_mul_f64_e32 v[110:111], s[44:45], v[132:133]
	s_delay_alu instid0(VALU_DEP_4) | instskip(SKIP_1) | instid1(VALU_DEP_4)
	v_add_f64_e32 v[2:3], v[2:3], v[102:103]
	v_mul_f64_e32 v[102:103], s[42:43], v[142:143]
	v_add_f64_e32 v[22:23], v[96:97], v[22:23]
	v_mul_f64_e32 v[96:97], s[42:43], v[132:133]
	s_delay_alu instid0(VALU_DEP_4) | instskip(NEXT) | instid1(VALU_DEP_4)
	v_add_f64_e32 v[2:3], v[2:3], v[50:51]
	v_fma_f64 v[114:115], v[140:141], s[2:3], v[102:103]
	v_fma_f64 v[102:103], v[140:141], s[2:3], -v[102:103]
	s_delay_alu instid0(VALU_DEP_3) | instskip(SKIP_1) | instid1(VALU_DEP_3)
	v_add_f64_e32 v[2:3], v[2:3], v[38:39]
	v_mul_f64_e32 v[38:39], s[48:49], v[160:161]
	v_add_f64_e32 v[22:23], v[102:103], v[22:23]
	s_delay_alu instid0(VALU_DEP_3) | instskip(NEXT) | instid1(VALU_DEP_3)
	v_add_f64_e32 v[2:3], v[2:3], v[32:33]
	v_fma_f64 v[46:47], v[154:155], s[10:11], -v[38:39]
	v_fma_f64 v[38:39], v[154:155], s[10:11], v[38:39]
	v_fma_f64 v[32:33], v[158:159], s[14:15], -v[24:25]
	v_fma_f64 v[24:25], v[158:159], s[14:15], v[24:25]
	v_add_f64_e32 v[2:3], v[2:3], v[14:15]
	scratch_load_b64 v[14:15], off, off offset:8 th:TH_LOAD_LU ; 8-byte Folded Reload
	v_add_f64_e32 v[32:33], v[32:33], v[124:125]
	v_add_f64_e32 v[24:25], v[24:25], v[128:129]
	v_fma_f64 v[128:129], v[108:109], s[34:35], v[110:111]
	v_fma_f64 v[110:111], v[108:109], s[34:35], -v[110:111]
	v_add_f64_e32 v[2:3], v[2:3], v[26:27]
	v_fma_f64 v[26:27], v[158:159], s[34:35], -v[188:189]
	v_fma_f64 v[188:189], v[144:145], s[2:3], v[194:195]
	s_delay_alu instid0(VALU_DEP_3) | instskip(SKIP_1) | instid1(VALU_DEP_2)
	v_add_f64_e32 v[2:3], v[2:3], v[34:35]
	v_fma_f64 v[34:35], v[158:159], s[24:25], v[247:248]
	v_add_f64_e32 v[2:3], v[2:3], v[54:55]
	scratch_load_b64 v[54:55], off, off offset:16 th:TH_LOAD_LU ; 8-byte Folded Reload
	v_add_f64_e32 v[34:35], v[34:35], v[116:117]
	v_add_f64_e32 v[2:3], v[2:3], v[104:105]
	v_mul_f64_e32 v[104:105], s[44:45], v[142:143]
	s_delay_alu instid0(VALU_DEP_2) | instskip(SKIP_2) | instid1(VALU_DEP_4)
	v_add_f64_e32 v[2:3], v[2:3], v[112:113]
	v_fma_f64 v[112:113], v[140:141], s[16:17], v[100:101]
	v_fma_f64 v[100:101], v[140:141], s[16:17], -v[100:101]
	v_fma_f64 v[116:117], v[140:141], s[34:35], -v[104:105]
	v_fma_f64 v[104:105], v[140:141], s[34:35], v[104:105]
	v_add_f64_e32 v[2:3], v[2:3], v[42:43]
	v_mul_f64_e32 v[42:43], s[20:21], v[160:161]
	v_fma_f64 v[160:161], v[150:151], s[14:15], v[186:187]
	v_mul_f64_e32 v[186:187], s[44:45], v[152:153]
	s_delay_alu instid0(VALU_DEP_4) | instskip(NEXT) | instid1(VALU_DEP_4)
	v_add_f64_e32 v[2:3], v[2:3], v[78:79]
	v_fma_f64 v[50:51], v[154:155], s[14:15], v[42:43]
	v_fma_f64 v[42:43], v[154:155], s[14:15], -v[42:43]
	v_fma_f64 v[78:79], v[154:155], s[8:9], -v[218:219]
	v_fma_f64 v[154:155], v[150:151], s[8:9], v[90:91]
	v_fma_f64 v[90:91], v[150:151], s[8:9], -v[90:91]
	v_fma_f64 v[192:193], v[144:145], s[34:35], -v[186:187]
	v_fma_f64 v[186:187], v[144:145], s[34:35], v[186:187]
	v_add_f64_e32 v[34:35], v[160:161], v[34:35]
	v_add_f64_e32 v[50:51], v[50:51], v[130:131]
	;; [unrolled: 1-line block ×4, first 2 shown]
	v_fma_f64 v[126:127], v[108:109], s[2:3], -v[96:97]
	v_fma_f64 v[96:97], v[108:109], s[2:3], v[96:97]
	v_fma_f64 v[118:119], v[140:141], s[12:13], v[230:231]
	v_mov_b32_e32 v231, v251
	v_dual_mov_b32 v251, v232 :: v_dual_mov_b32 v230, v255
	v_mov_b32_e32 v232, v4
	v_fma_f64 v[4:5], v[92:93], s[10:11], v[8:9]
	v_fma_f64 v[8:9], v[82:83], s[34:35], v[16:17]
	;; [unrolled: 1-line block ×3, first 2 shown]
	v_fma_f64 v[18:19], v[68:69], s[16:17], -v[20:21]
	s_wait_loadcnt 0x1
	v_add_f64_e32 v[14:15], v[2:3], v[14:15]
	v_mul_f64_e32 v[2:3], s[48:49], v[162:163]
	v_mul_f64_e32 v[162:163], s[18:19], v[152:153]
	;; [unrolled: 1-line block ×3, first 2 shown]
	v_add_f64_e32 v[34:35], v[118:119], v[34:35]
	s_delay_alu instid0(VALU_DEP_4)
	v_fma_f64 v[28:29], v[158:159], s[10:11], v[2:3]
	v_fma_f64 v[2:3], v[158:159], s[10:11], -v[2:3]
	v_fma_f64 v[190:191], v[144:145], s[8:9], -v[162:163]
	v_fma_f64 v[162:163], v[144:145], s[8:9], v[162:163]
	v_fma_f64 v[158:159], v[150:151], s[12:13], -v[146:147]
	v_fma_f64 v[146:147], v[150:151], s[12:13], v[146:147]
	v_fma_f64 v[194:195], v[144:145], s[12:13], v[152:153]
	v_fma_f64 v[152:153], v[144:145], s[12:13], -v[152:153]
	v_fma_f64 v[150:151], v[150:151], s[16:17], v[220:221]
	v_fma_f64 v[144:145], v[144:145], s[16:17], -v[222:223]
	v_add_f64_e32 v[4:5], v[4:5], v[34:35]
	v_mul_f64_e32 v[34:35], s[30:31], v[86:87]
	v_add_f64_e32 v[32:33], v[158:159], v[32:33]
	v_add_f64_e32 v[24:25], v[146:147], v[24:25]
	;; [unrolled: 1-line block ×7, first 2 shown]
	v_mul_f64_e32 v[8:9], s[28:29], v[74:75]
	s_wait_loadcnt 0x0
	v_add_f64_e32 v[26:27], v[26:27], v[54:55]
	scratch_load_b64 v[54:55], off, off offset:32 th:TH_LOAD_LU ; 8-byte Folded Reload
	v_add_f64_e32 v[32:33], v[116:117], v[32:33]
	v_add_f64_e32 v[24:25], v[104:105], v[24:25]
	v_mul_f64_e32 v[104:105], s[36:37], v[94:95]
	v_add_f64_e32 v[42:43], v[110:111], v[42:43]
	v_add_f64_e32 v[36:37], v[120:121], v[36:37]
	;; [unrolled: 1-line block ×5, first 2 shown]
	s_delay_alu instid0(VALU_DEP_1) | instskip(SKIP_2) | instid1(VALU_DEP_3)
	v_add_f64_e32 v[26:27], v[106:107], v[26:27]
	v_fma_f64 v[106:107], v[88:89], s[16:17], -v[104:105]
	v_fma_f64 v[104:105], v[88:89], s[16:17], v[104:105]
	v_add_f64_e32 v[26:27], v[76:77], v[26:27]
	v_fma_f64 v[76:77], v[88:89], s[24:25], v[202:203]
	s_wait_loadcnt 0x0
	v_add_f64_e32 v[44:45], v[44:45], v[54:55]
	scratch_load_b64 v[54:55], off, off offset:48 th:TH_LOAD_LU ; 8-byte Folded Reload
	v_add_f64_e32 v[44:45], v[188:189], v[44:45]
	s_delay_alu instid0(VALU_DEP_1) | instskip(NEXT) | instid1(VALU_DEP_1)
	v_add_f64_e32 v[44:45], v[122:123], v[44:45]
	v_add_f64_e32 v[44:45], v[76:77], v[44:45]
	v_mul_f64_e32 v[76:77], s[40:41], v[98:99]
	s_wait_loadcnt 0x0
	v_add_f64_e32 v[28:29], v[28:29], v[54:55]
	scratch_load_b64 v[54:55], off, off offset:64 th:TH_LOAD_LU ; 8-byte Folded Reload
	v_add_f64_e32 v[28:29], v[154:155], v[28:29]
	s_delay_alu instid0(VALU_DEP_1) | instskip(SKIP_1) | instid1(VALU_DEP_1)
	v_add_f64_e32 v[28:29], v[112:113], v[28:29]
	v_fma_f64 v[112:113], v[88:89], s[10:11], -v[168:169]
	v_add_f64_e32 v[0:1], v[112:113], v[0:1]
	s_delay_alu instid0(VALU_DEP_1) | instskip(SKIP_1) | instid1(VALU_DEP_2)
	v_add_f64_e32 v[0:1], v[10:11], v[0:1]
	v_mul_f64_e32 v[10:11], s[26:27], v[74:75]
	v_add_f64_e32 v[0:1], v[18:19], v[0:1]
	s_wait_loadcnt 0x0
	v_add_f64_e32 v[46:47], v[46:47], v[54:55]
	scratch_load_b64 v[54:55], off, off offset:80 th:TH_LOAD_LU ; 8-byte Folded Reload
	v_add_f64_e32 v[46:47], v[190:191], v[46:47]
	s_wait_loadcnt 0x0
	v_add_f64_e32 v[2:3], v[2:3], v[54:55]
	scratch_load_b64 v[54:55], off, off offset:96 th:TH_LOAD_LU ; 8-byte Folded Reload
	v_add_f64_e32 v[2:3], v[90:91], v[2:3]
	v_mul_f64_e32 v[90:91], s[36:37], v[132:133]
	s_delay_alu instid0(VALU_DEP_2) | instskip(NEXT) | instid1(VALU_DEP_2)
	v_add_f64_e32 v[2:3], v[100:101], v[2:3]
	v_fma_f64 v[124:125], v[108:109], s[16:17], -v[90:91]
	v_fma_f64 v[90:91], v[108:109], s[16:17], v[90:91]
	v_fma_f64 v[108:109], v[108:109], s[24:25], -v[226:227]
	s_delay_alu instid0(VALU_DEP_3) | instskip(NEXT) | instid1(VALU_DEP_2)
	v_add_f64_e32 v[46:47], v[124:125], v[46:47]
	v_add_f64_e32 v[78:79], v[108:109], v[78:79]
	s_wait_loadcnt 0x0
	v_add_f64_e32 v[38:39], v[38:39], v[54:55]
	scratch_load_b64 v[54:55], off, off offset:112 th:TH_LOAD_LU ; 8-byte Folded Reload
	v_add_f64_e32 v[38:39], v[162:163], v[38:39]
	s_delay_alu instid0(VALU_DEP_1) | instskip(SKIP_2) | instid1(VALU_DEP_2)
	v_add_f64_e32 v[38:39], v[90:91], v[38:39]
	v_fma_f64 v[90:91], v[92:93], s[12:13], v[76:77]
	v_fma_f64 v[76:77], v[92:93], s[12:13], -v[76:77]
	v_add_f64_e32 v[28:29], v[90:91], v[28:29]
	v_mul_f64_e32 v[90:91], s[40:41], v[94:95]
	s_delay_alu instid0(VALU_DEP_3) | instskip(SKIP_1) | instid1(VALU_DEP_3)
	v_add_f64_e32 v[2:3], v[76:77], v[2:3]
	v_mul_f64_e32 v[94:95], s[18:19], v[94:95]
	v_fma_f64 v[76:77], v[88:89], s[12:13], v[90:91]
	s_delay_alu instid0(VALU_DEP_2) | instskip(SKIP_1) | instid1(VALU_DEP_3)
	v_fma_f64 v[110:111], v[88:89], s[8:9], v[94:95]
	v_fma_f64 v[94:95], v[88:89], s[8:9], -v[94:95]
	v_add_f64_e32 v[38:39], v[76:77], v[38:39]
	v_mul_f64_e32 v[76:77], s[36:37], v[98:99]
	v_mul_f64_e32 v[98:99], s[18:19], v[98:99]
	s_delay_alu instid0(VALU_DEP_4)
	v_add_f64_e32 v[42:43], v[94:95], v[42:43]
	v_add_f64_e32 v[50:51], v[110:111], v[50:51]
	s_wait_loadcnt 0x0
	v_add_f64_e32 v[30:31], v[30:31], v[54:55]
	scratch_load_b64 v[54:55], off, off offset:128 th:TH_LOAD_LU ; 8-byte Folded Reload
	v_add_f64_e32 v[30:31], v[156:157], v[30:31]
	s_delay_alu instid0(VALU_DEP_1) | instskip(SKIP_4) | instid1(VALU_DEP_1)
	v_add_f64_e32 v[30:31], v[114:115], v[30:31]
	s_wait_loadcnt 0x0
	v_add_f64_e32 v[48:49], v[48:49], v[54:55]
	scratch_load_b64 v[54:55], off, off offset:144 th:TH_LOAD_LU ; 8-byte Folded Reload
	v_add_f64_e32 v[48:49], v[192:193], v[48:49]
	v_add_f64_e32 v[48:49], v[126:127], v[48:49]
	s_delay_alu instid0(VALU_DEP_1) | instskip(SKIP_2) | instid1(VALU_DEP_1)
	v_add_f64_e32 v[48:49], v[106:107], v[48:49]
	s_wait_loadcnt 0x0
	v_add_f64_e32 v[40:41], v[40:41], v[54:55]
	v_add_f64_e32 v[40:41], v[186:187], v[40:41]
	s_delay_alu instid0(VALU_DEP_1)
	v_add_f64_e32 v[40:41], v[96:97], v[40:41]
	v_fma_f64 v[96:97], v[88:89], s[12:13], -v[90:91]
	v_fma_f64 v[90:91], v[92:93], s[16:17], v[76:77]
	v_fma_f64 v[76:77], v[92:93], s[16:17], -v[76:77]
	v_fma_f64 v[88:89], v[88:89], s[34:35], -v[233:234]
	v_add_f64_e32 v[40:41], v[104:105], v[40:41]
	v_add_f64_e32 v[46:47], v[96:97], v[46:47]
	;; [unrolled: 1-line block ×3, first 2 shown]
	v_fma_f64 v[90:91], v[82:83], s[8:9], -v[204:205]
	v_add_f64_e32 v[22:23], v[76:77], v[22:23]
	v_add_f64_e32 v[78:79], v[88:89], v[78:79]
	v_fma_f64 v[88:89], v[164:165], s[12:13], -v[245:246]
	s_delay_alu instid0(VALU_DEP_4) | instskip(SKIP_1) | instid1(VALU_DEP_1)
	v_add_f64_e32 v[26:27], v[90:91], v[26:27]
	v_fma_f64 v[90:91], v[80:81], s[8:9], v[206:207]
	v_add_f64_e32 v[44:45], v[90:91], v[44:45]
	v_mul_f64_e32 v[90:91], s[38:39], v[86:87]
	s_delay_alu instid0(VALU_DEP_1) | instskip(SKIP_1) | instid1(VALU_DEP_2)
	v_fma_f64 v[96:97], v[82:83], s[24:25], v[90:91]
	v_fma_f64 v[90:91], v[82:83], s[24:25], -v[90:91]
	v_add_f64_e32 v[28:29], v[96:97], v[28:29]
	v_mul_f64_e32 v[96:97], s[38:39], v[84:85]
	s_delay_alu instid0(VALU_DEP_3) | instskip(NEXT) | instid1(VALU_DEP_2)
	v_add_f64_e32 v[2:3], v[90:91], v[2:3]
	v_fma_f64 v[90:91], v[80:81], s[24:25], v[96:97]
	v_fma_f64 v[100:101], v[80:81], s[24:25], -v[96:97]
	s_delay_alu instid0(VALU_DEP_2) | instskip(SKIP_1) | instid1(VALU_DEP_3)
	v_add_f64_e32 v[38:39], v[90:91], v[38:39]
	v_mul_f64_e32 v[90:91], s[22:23], v[86:87]
	v_add_f64_e32 v[46:47], v[100:101], v[46:47]
	v_fma_f64 v[86:87], v[82:83], s[2:3], -v[34:35]
	v_fma_f64 v[34:35], v[82:83], s[2:3], v[34:35]
	s_delay_alu instid0(VALU_DEP_4)
	v_fma_f64 v[96:97], v[82:83], s[10:11], v[90:91]
	v_fma_f64 v[76:77], v[82:83], s[10:11], -v[90:91]
	v_mul_f64_e32 v[90:91], s[22:23], v[84:85]
	v_mul_f64_e32 v[84:85], s[30:31], v[84:85]
	v_fma_f64 v[82:83], v[82:83], s[14:15], v[235:236]
	v_add_f64_e32 v[30:31], v[96:97], v[30:31]
	v_fma_f64 v[96:97], v[70:71], s[12:13], -v[208:209]
	v_add_f64_e32 v[22:23], v[76:77], v[22:23]
	v_fma_f64 v[94:95], v[80:81], s[2:3], v[84:85]
	v_fma_f64 v[84:85], v[80:81], s[2:3], -v[84:85]
	v_fma_f64 v[76:77], v[70:71], s[24:25], -v[10:11]
	v_fma_f64 v[10:11], v[70:71], s[24:25], v[10:11]
	v_add_f64_e32 v[26:27], v[96:97], v[26:27]
	v_fma_f64 v[96:97], v[68:69], s[12:13], v[210:211]
	v_add_f64_e32 v[50:51], v[94:95], v[50:51]
	s_delay_alu instid0(VALU_DEP_2) | instskip(SKIP_3) | instid1(VALU_DEP_3)
	v_add_f64_e32 v[44:45], v[96:97], v[44:45]
	v_mul_f64_e32 v[96:97], s[30:31], v[74:75]
	v_fma_f64 v[74:75], v[70:71], s[14:15], v[8:9]
	v_fma_f64 v[8:9], v[70:71], s[14:15], -v[8:9]
	v_fma_f64 v[100:101], v[70:71], s[2:3], v[96:97]
	s_delay_alu instid0(VALU_DEP_2) | instskip(SKIP_1) | instid1(VALU_DEP_3)
	v_add_f64_e32 v[8:9], v[8:9], v[22:23]
	v_mul_f64_e32 v[22:23], s[20:21], v[62:63]
	v_add_f64_e32 v[100:101], v[100:101], v[28:29]
	v_mul_f64_e32 v[28:29], s[30:31], v[72:73]
	s_delay_alu instid0(VALU_DEP_1) | instskip(SKIP_1) | instid1(VALU_DEP_2)
	v_fma_f64 v[102:103], v[68:69], s[2:3], -v[28:29]
	v_fma_f64 v[28:29], v[68:69], s[2:3], v[28:29]
	v_add_f64_e32 v[46:47], v[102:103], v[46:47]
	v_fma_f64 v[102:103], v[92:93], s[8:9], -v[98:99]
	v_fma_f64 v[98:99], v[92:93], s[8:9], v[98:99]
	v_fma_f64 v[92:93], v[92:93], s[34:35], v[228:229]
	v_add_f64_e32 v[38:39], v[28:29], v[38:39]
	s_delay_alu instid0(VALU_DEP_4) | instskip(NEXT) | instid1(VALU_DEP_4)
	v_add_f64_e32 v[32:33], v[102:103], v[32:33]
	v_add_f64_e32 v[24:25], v[98:99], v[24:25]
	s_delay_alu instid0(VALU_DEP_4)
	v_add_f64_e32 v[36:37], v[92:93], v[36:37]
	v_fma_f64 v[92:93], v[80:81], s[10:11], -v[90:91]
	v_fma_f64 v[90:91], v[80:81], s[10:11], v[90:91]
	v_fma_f64 v[80:81], v[80:81], s[14:15], -v[237:238]
	v_add_f64_e32 v[32:33], v[86:87], v[32:33]
	v_add_f64_e32 v[24:25], v[34:35], v[24:25]
	;; [unrolled: 1-line block ×3, first 2 shown]
	v_fma_f64 v[42:43], v[70:71], s[2:3], -v[96:97]
	v_add_f64_e32 v[36:37], v[82:83], v[36:37]
	v_add_f64_e32 v[78:79], v[80:81], v[78:79]
	v_fma_f64 v[80:81], v[164:165], s[16:17], v[214:215]
	v_mul_f64_e32 v[82:83], s[28:29], v[72:73]
	v_mul_f64_e32 v[72:73], s[26:27], v[72:73]
	v_add_f64_e32 v[40:41], v[90:91], v[40:41]
	v_fma_f64 v[70:71], v[70:71], s[10:11], v[239:240]
	v_add_f64_e32 v[48:49], v[92:93], v[48:49]
	v_add_f64_e32 v[28:29], v[76:77], v[32:33]
	v_fma_f64 v[76:77], v[60:61], s[16:17], -v[212:213]
	v_add_f64_e32 v[10:11], v[10:11], v[24:25]
	v_add_f64_e32 v[2:3], v[42:43], v[2:3]
	;; [unrolled: 1-line block ×3, first 2 shown]
	v_mul_f64_e32 v[30:31], s[18:19], v[62:63]
	v_mul_f64_e32 v[74:75], s[22:23], v[166:167]
	v_fma_f64 v[84:85], v[68:69], s[14:15], -v[82:83]
	v_fma_f64 v[86:87], v[68:69], s[24:25], v[72:73]
	v_fma_f64 v[82:83], v[68:69], s[14:15], v[82:83]
	v_mul_f64_e32 v[24:25], s[18:19], v[166:167]
	v_fma_f64 v[72:73], v[68:69], s[24:25], -v[72:73]
	v_fma_f64 v[68:69], v[68:69], s[10:11], -v[241:242]
	v_add_f64_e32 v[18:19], v[76:77], v[26:27]
	v_fma_f64 v[16:17], v[60:61], s[8:9], -v[30:31]
	v_add_f64_e32 v[48:49], v[84:85], v[48:49]
	v_add_f64_e32 v[32:33], v[86:87], v[50:51]
	v_mul_f64_e32 v[50:51], s[22:23], v[62:63]
	v_mul_f64_e32 v[62:63], s[20:21], v[166:167]
	v_add_f64_e32 v[40:41], v[82:83], v[40:41]
	v_fma_f64 v[82:83], v[60:61], s[8:9], v[30:31]
	v_add_f64_e32 v[72:73], v[72:73], v[34:35]
	v_fma_f64 v[34:35], v[60:61], s[14:15], v[22:23]
	v_fma_f64 v[22:23], v[60:61], s[14:15], -v[22:23]
	v_fma_f64 v[84:85], v[60:61], s[2:3], v[52:53]
	v_add_f64_e32 v[68:69], v[68:69], v[78:79]
	v_add_f64_e32 v[26:27], v[16:17], v[8:9]
	;; [unrolled: 1-line block ×4, first 2 shown]
	s_clause 0x1
	scratch_load_b32 v0, off, off offset:4 th:TH_LOAD_LU
	scratch_load_b32 v1, off, off offset:1052 th:TH_LOAD_LU
	v_fma_f64 v[30:31], v[60:61], s[10:11], -v[50:51]
	v_fma_f64 v[86:87], v[164:165], s[14:15], -v[62:63]
	v_fma_f64 v[20:21], v[164:165], s[14:15], v[62:63]
	v_add_f64_e32 v[62:63], v[70:71], v[36:37]
	v_fma_f64 v[70:71], v[164:165], s[10:11], v[74:75]
	v_fma_f64 v[36:37], v[164:165], s[8:9], -v[24:25]
	v_fma_f64 v[24:25], v[164:165], s[8:9], v[24:25]
	v_fma_f64 v[50:51], v[60:61], s[10:11], v[50:51]
	v_fma_f64 v[74:75], v[164:165], s[10:11], -v[74:75]
	v_fma_f64 v[60:61], v[60:61], s[12:13], v[243:244]
	v_add_f64_e32 v[22:23], v[22:23], v[2:3]
	v_add_f64_e32 v[34:35], v[34:35], v[100:101]
	;; [unrolled: 1-line block ×14, first 2 shown]
	s_wait_loadcnt 0x0
	v_lshl_add_u32 v0, v1, 4, v0
	ds_store_b128 v0, v[12:15] offset:7616
	ds_store_b128 v0, v[178:181] offset:7728
	;; [unrolled: 1-line block ×17, first 2 shown]
.LBB0_9:
	s_or_b32 exec_lo, exec_lo, s33
	global_wb scope:SCOPE_SE
	s_wait_storecnt_dscnt 0x0
	s_barrier_signal -1
	s_barrier_wait -1
	global_inv scope:SCOPE_SE
	s_clause 0x3
	scratch_load_b128 v[6:9], off, off offset:304 th:TH_LOAD_LU
	scratch_load_b128 v[18:21], off, off offset:320 th:TH_LOAD_LU
	;; [unrolled: 1-line block ×4, first 2 shown]
	ds_load_b128 v[0:3], v252 offset:1904
	scratch_load_b128 v[22:25], off, off offset:368 th:TH_LOAD_LU ; 16-byte Folded Reload
	s_mov_b32 s10, 0x134454ff
	s_mov_b32 s11, 0xbfee6f0e
	;; [unrolled: 1-line block ×3, first 2 shown]
	s_wait_alu 0xfffe
	s_mov_b32 s14, s10
	s_mov_b32 s2, 0x4755a5e
	;; [unrolled: 1-line block ×4, first 2 shown]
	s_wait_alu 0xfffe
	s_mov_b32 s8, s2
	s_mov_b32 s12, 0x372fe950
	s_mov_b32 s13, 0x3fd3c6ef
	s_wait_loadcnt_dscnt 0x400
	v_mul_f64_e32 v[4:5], v[8:9], v[2:3]
	s_delay_alu instid0(VALU_DEP_1) | instskip(SKIP_1) | instid1(VALU_DEP_1)
	v_fma_f64 v[4:5], v[6:7], v[0:1], v[4:5]
	v_mul_f64_e32 v[0:1], v[8:9], v[0:1]
	v_fma_f64 v[6:7], v[6:7], v[2:3], -v[0:1]
	ds_load_b128 v[0:3], v252 offset:3808
	s_wait_loadcnt_dscnt 0x200
	v_mul_f64_e32 v[8:9], v[12:13], v[2:3]
	s_delay_alu instid0(VALU_DEP_1) | instskip(SKIP_1) | instid1(VALU_DEP_1)
	v_fma_f64 v[8:9], v[10:11], v[0:1], v[8:9]
	v_mul_f64_e32 v[0:1], v[12:13], v[0:1]
	v_fma_f64 v[10:11], v[10:11], v[2:3], -v[0:1]
	ds_load_b128 v[0:3], v252 offset:5712
	s_wait_loadcnt_dscnt 0x100
	v_mul_f64_e32 v[12:13], v[16:17], v[2:3]
	s_delay_alu instid0(VALU_DEP_1) | instskip(SKIP_1) | instid1(VALU_DEP_2)
	v_fma_f64 v[12:13], v[14:15], v[0:1], v[12:13]
	v_mul_f64_e32 v[0:1], v[16:17], v[0:1]
	v_add_f64_e64 v[118:119], v[8:9], -v[12:13]
	s_delay_alu instid0(VALU_DEP_2) | instskip(SKIP_4) | instid1(VALU_DEP_2)
	v_fma_f64 v[14:15], v[14:15], v[2:3], -v[0:1]
	ds_load_b128 v[0:3], v252 offset:7616
	s_wait_dscnt 0x0
	v_mul_f64_e32 v[16:17], v[20:21], v[2:3]
	v_add_f64_e64 v[34:35], v[10:11], -v[14:15]
	v_fma_f64 v[16:17], v[18:19], v[0:1], v[16:17]
	v_mul_f64_e32 v[0:1], v[20:21], v[0:1]
	s_delay_alu instid0(VALU_DEP_2) | instskip(NEXT) | instid1(VALU_DEP_2)
	v_add_f64_e64 v[116:117], v[4:5], -v[16:17]
	v_fma_f64 v[18:19], v[18:19], v[2:3], -v[0:1]
	ds_load_b128 v[0:3], v252 offset:2176
	s_wait_loadcnt_dscnt 0x0
	v_mul_f64_e32 v[20:21], v[24:25], v[2:3]
	v_add_f64_e64 v[32:33], v[6:7], -v[18:19]
	s_delay_alu instid0(VALU_DEP_2) | instskip(SKIP_1) | instid1(VALU_DEP_1)
	v_fma_f64 v[124:125], v[22:23], v[0:1], v[20:21]
	v_mul_f64_e32 v[0:1], v[24:25], v[0:1]
	v_fma_f64 v[128:129], v[22:23], v[2:3], -v[0:1]
	scratch_load_b128 v[22:25], off, off offset:352 th:TH_LOAD_LU ; 16-byte Folded Reload
	ds_load_b128 v[0:3], v252 offset:4080
	s_wait_loadcnt_dscnt 0x0
	v_mul_f64_e32 v[20:21], v[24:25], v[2:3]
	s_delay_alu instid0(VALU_DEP_1) | instskip(SKIP_1) | instid1(VALU_DEP_1)
	v_fma_f64 v[126:127], v[22:23], v[0:1], v[20:21]
	v_mul_f64_e32 v[0:1], v[24:25], v[0:1]
	v_fma_f64 v[130:131], v[22:23], v[2:3], -v[0:1]
	scratch_load_b128 v[22:25], off, off offset:336 th:TH_LOAD_LU ; 16-byte Folded Reload
	ds_load_b128 v[0:3], v252 offset:5984
	s_wait_loadcnt_dscnt 0x0
	v_mul_f64_e32 v[20:21], v[24:25], v[2:3]
	s_delay_alu instid0(VALU_DEP_1) | instskip(SKIP_1) | instid1(VALU_DEP_2)
	v_fma_f64 v[132:133], v[22:23], v[0:1], v[20:21]
	v_mul_f64_e32 v[0:1], v[24:25], v[0:1]
	v_add_f64_e64 v[140:141], v[126:127], -v[132:133]
	s_delay_alu instid0(VALU_DEP_2) | instskip(SKIP_4) | instid1(VALU_DEP_1)
	v_fma_f64 v[134:135], v[22:23], v[2:3], -v[0:1]
	scratch_load_b128 v[22:25], off, off offset:384 th:TH_LOAD_LU ; 16-byte Folded Reload
	ds_load_b128 v[0:3], v252 offset:7888
	s_wait_loadcnt_dscnt 0x0
	v_mul_f64_e32 v[20:21], v[24:25], v[2:3]
	v_fma_f64 v[136:137], v[22:23], v[0:1], v[20:21]
	v_mul_f64_e32 v[0:1], v[24:25], v[0:1]
	s_delay_alu instid0(VALU_DEP_2) | instskip(NEXT) | instid1(VALU_DEP_2)
	v_add_f64_e64 v[142:143], v[124:125], -v[136:137]
	v_fma_f64 v[138:139], v[22:23], v[2:3], -v[0:1]
	scratch_load_b128 v[22:25], off, off offset:416 th:TH_LOAD_LU ; 16-byte Folded Reload
	ds_load_b128 v[0:3], v252 offset:2448
	s_wait_loadcnt_dscnt 0x0
	v_mul_f64_e32 v[20:21], v[24:25], v[2:3]
	s_delay_alu instid0(VALU_DEP_1) | instskip(SKIP_1) | instid1(VALU_DEP_1)
	v_fma_f64 v[36:37], v[22:23], v[0:1], v[20:21]
	v_mul_f64_e32 v[0:1], v[24:25], v[0:1]
	v_fma_f64 v[38:39], v[22:23], v[2:3], -v[0:1]
	scratch_load_b128 v[22:25], off, off offset:400 th:TH_LOAD_LU ; 16-byte Folded Reload
	ds_load_b128 v[0:3], v252 offset:4352
	s_wait_loadcnt_dscnt 0x0
	v_mul_f64_e32 v[20:21], v[24:25], v[2:3]
	s_delay_alu instid0(VALU_DEP_1) | instskip(SKIP_1) | instid1(VALU_DEP_1)
	v_fma_f64 v[40:41], v[22:23], v[0:1], v[20:21]
	v_mul_f64_e32 v[0:1], v[24:25], v[0:1]
	;; [unrolled: 8-line block ×19, first 2 shown]
	v_fma_f64 v[110:111], v[22:23], v[2:3], -v[0:1]
	scratch_load_b128 v[22:25], off, off offset:1280 th:TH_LOAD_LU ; 16-byte Folded Reload
	ds_load_b128 v[0:3], v252 offset:9248
	s_wait_loadcnt_dscnt 0x0
	v_mul_f64_e32 v[20:21], v[24:25], v[2:3]
	s_delay_alu instid0(VALU_DEP_1) | instskip(SKIP_2) | instid1(VALU_DEP_2)
	v_fma_f64 v[112:113], v[22:23], v[0:1], v[20:21]
	v_mul_f64_e32 v[0:1], v[24:25], v[0:1]
	v_add_f64_e32 v[24:25], v[8:9], v[12:13]
	v_fma_f64 v[114:115], v[22:23], v[2:3], -v[0:1]
	v_add_f64_e64 v[0:1], v[4:5], -v[8:9]
	v_add_f64_e64 v[2:3], v[16:17], -v[12:13]
	s_delay_alu instid0(VALU_DEP_1) | instskip(SKIP_2) | instid1(VALU_DEP_1)
	v_add_f64_e32 v[20:21], v[0:1], v[2:3]
	v_add_f64_e64 v[0:1], v[6:7], -v[10:11]
	v_add_f64_e64 v[2:3], v[18:19], -v[14:15]
	v_add_f64_e32 v[22:23], v[0:1], v[2:3]
	ds_load_b128 v[0:3], v252
	s_wait_dscnt 0x0
	v_fma_f64 v[28:29], v[24:25], -0.5, v[0:1]
	v_add_f64_e32 v[24:25], v[10:11], v[14:15]
	s_delay_alu instid0(VALU_DEP_1) | instskip(NEXT) | instid1(VALU_DEP_3)
	v_fma_f64 v[30:31], v[24:25], -0.5, v[2:3]
	v_fma_f64 v[24:25], v[32:33], s[10:11], v[28:29]
	v_fma_f64 v[28:29], v[32:33], s[14:15], v[28:29]
	s_delay_alu instid0(VALU_DEP_3) | instskip(SKIP_1) | instid1(VALU_DEP_4)
	v_fma_f64 v[26:27], v[116:117], s[14:15], v[30:31]
	v_fma_f64 v[30:31], v[116:117], s[10:11], v[30:31]
	;; [unrolled: 1-line block ×3, first 2 shown]
	s_wait_alu 0xfffe
	s_delay_alu instid0(VALU_DEP_4) | instskip(NEXT) | instid1(VALU_DEP_4)
	v_fma_f64 v[28:29], v[34:35], s[8:9], v[28:29]
	v_fma_f64 v[26:27], v[118:119], s[8:9], v[26:27]
	s_delay_alu instid0(VALU_DEP_4) | instskip(NEXT) | instid1(VALU_DEP_4)
	v_fma_f64 v[30:31], v[118:119], s[2:3], v[30:31]
	v_fma_f64 v[24:25], v[20:21], s[12:13], v[24:25]
	s_delay_alu instid0(VALU_DEP_4) | instskip(SKIP_4) | instid1(VALU_DEP_4)
	v_fma_f64 v[20:21], v[20:21], s[12:13], v[28:29]
	v_add_f64_e32 v[28:29], v[4:5], v[16:17]
	v_fma_f64 v[26:27], v[22:23], s[12:13], v[26:27]
	v_fma_f64 v[22:23], v[22:23], s[12:13], v[30:31]
	v_add_f64_e32 v[30:31], v[6:7], v[18:19]
	v_fma_f64 v[28:29], v[28:29], -0.5, v[0:1]
	v_add_f64_e32 v[0:1], v[0:1], v[4:5]
	v_add_f64_e64 v[4:5], v[8:9], -v[4:5]
	s_delay_alu instid0(VALU_DEP_4) | instskip(SKIP_4) | instid1(VALU_DEP_4)
	v_fma_f64 v[30:31], v[30:31], -0.5, v[2:3]
	v_add_f64_e32 v[2:3], v[2:3], v[6:7]
	v_add_f64_e64 v[6:7], v[10:11], -v[6:7]
	v_add_f64_e32 v[0:1], v[0:1], v[8:9]
	v_add_f64_e64 v[8:9], v[12:13], -v[16:17]
	;; [unrolled: 2-line block ×3, first 2 shown]
	s_delay_alu instid0(VALU_DEP_4)
	v_add_f64_e32 v[0:1], v[0:1], v[12:13]
	v_fma_f64 v[12:13], v[34:35], s[14:15], v[28:29]
	v_add_f64_e32 v[4:5], v[4:5], v[8:9]
	v_add_f64_e32 v[2:3], v[2:3], v[14:15]
	v_fma_f64 v[14:15], v[34:35], s[10:11], v[28:29]
	v_add_f64_e32 v[0:1], v[0:1], v[16:17]
	v_fma_f64 v[16:17], v[118:119], s[10:11], v[30:31]
	;; [unrolled: 2-line block ×4, first 2 shown]
	v_fma_f64 v[10:11], v[32:33], s[8:9], v[14:15]
	v_fma_f64 v[12:13], v[116:117], s[8:9], v[16:17]
	v_add_f64_e64 v[16:17], v[130:131], -v[134:135]
	v_fma_f64 v[32:33], v[4:5], s[12:13], v[8:9]
	ds_store_b128 v252, v[0:3]
	v_fma_f64 v[14:15], v[116:117], s[2:3], v[18:19]
	v_fma_f64 v[28:29], v[4:5], s[12:13], v[10:11]
	;; [unrolled: 1-line block ×3, first 2 shown]
	v_add_f64_e64 v[4:5], v[126:127], -v[124:125]
	v_add_f64_e32 v[12:13], v[124:125], v[136:137]
	v_add_f64_e64 v[18:19], v[128:129], -v[138:139]
	v_fma_f64 v[30:31], v[6:7], s[12:13], v[14:15]
	v_add_f64_e64 v[6:7], v[132:133], -v[136:137]
	v_add_f64_e32 v[14:15], v[128:129], v[138:139]
	s_delay_alu instid0(VALU_DEP_2) | instskip(SKIP_2) | instid1(VALU_DEP_1)
	v_add_f64_e32 v[8:9], v[4:5], v[6:7]
	v_add_f64_e64 v[4:5], v[130:131], -v[128:129]
	v_add_f64_e64 v[6:7], v[134:135], -v[138:139]
	v_add_f64_e32 v[10:11], v[4:5], v[6:7]
	ds_load_b128 v[4:7], v252 offset:272
	s_wait_dscnt 0x0
	v_fma_f64 v[12:13], v[12:13], -0.5, v[4:5]
	v_fma_f64 v[14:15], v[14:15], -0.5, v[6:7]
	s_delay_alu instid0(VALU_DEP_2) | instskip(NEXT) | instid1(VALU_DEP_2)
	v_fma_f64 v[116:117], v[16:17], s[14:15], v[12:13]
	v_fma_f64 v[118:119], v[140:141], s[10:11], v[14:15]
	;; [unrolled: 1-line block ×4, first 2 shown]
	s_delay_alu instid0(VALU_DEP_4) | instskip(NEXT) | instid1(VALU_DEP_4)
	v_fma_f64 v[116:117], v[18:19], s[2:3], v[116:117]
	v_fma_f64 v[118:119], v[142:143], s[8:9], v[118:119]
	s_delay_alu instid0(VALU_DEP_4) | instskip(NEXT) | instid1(VALU_DEP_4)
	v_fma_f64 v[12:13], v[18:19], s[8:9], v[12:13]
	v_fma_f64 v[14:15], v[142:143], s[2:3], v[14:15]
	;; [unrolled: 3-line block ×4, first 2 shown]
	v_add_f64_e32 v[8:9], v[126:127], v[132:133]
	v_add_f64_e32 v[10:11], v[130:131], v[134:135]
	v_add_f64_e64 v[12:13], v[124:125], -v[126:127]
	s_delay_alu instid0(VALU_DEP_3) | instskip(NEXT) | instid1(VALU_DEP_3)
	v_fma_f64 v[8:9], v[8:9], -0.5, v[4:5]
	v_fma_f64 v[10:11], v[10:11], -0.5, v[6:7]
	v_add_f64_e32 v[4:5], v[4:5], v[124:125]
	v_add_f64_e32 v[6:7], v[6:7], v[128:129]
	s_delay_alu instid0(VALU_DEP_4) | instskip(SKIP_1) | instid1(VALU_DEP_4)
	v_fma_f64 v[14:15], v[18:19], s[10:11], v[8:9]
	v_fma_f64 v[8:9], v[18:19], s[14:15], v[8:9]
	v_add_f64_e32 v[4:5], v[4:5], v[126:127]
	s_delay_alu instid0(VALU_DEP_4)
	v_add_f64_e32 v[6:7], v[6:7], v[130:131]
	v_add_f64_e64 v[18:19], v[136:137], -v[132:133]
	v_fma_f64 v[14:15], v[16:17], s[2:3], v[14:15]
	v_fma_f64 v[8:9], v[16:17], s[8:9], v[8:9]
	v_add_f64_e32 v[4:5], v[4:5], v[132:133]
	v_add_f64_e32 v[6:7], v[6:7], v[134:135]
	;; [unrolled: 1-line block ×3, first 2 shown]
	s_delay_alu instid0(VALU_DEP_3) | instskip(NEXT) | instid1(VALU_DEP_3)
	v_add_f64_e32 v[124:125], v[4:5], v[136:137]
	v_add_f64_e32 v[126:127], v[6:7], v[138:139]
	v_add_f64_e64 v[4:5], v[128:129], -v[130:131]
	v_add_f64_e64 v[6:7], v[138:139], -v[134:135]
	v_fma_f64 v[128:129], v[142:143], s[14:15], v[10:11]
	v_fma_f64 v[10:11], v[142:143], s[10:11], v[10:11]
	;; [unrolled: 1-line block ×3, first 2 shown]
	s_delay_alu instid0(VALU_DEP_4) | instskip(NEXT) | instid1(VALU_DEP_4)
	v_add_f64_e32 v[4:5], v[4:5], v[6:7]
	v_fma_f64 v[6:7], v[140:141], s[8:9], v[128:129]
	s_delay_alu instid0(VALU_DEP_4) | instskip(SKIP_1) | instid1(VALU_DEP_3)
	v_fma_f64 v[10:11], v[140:141], s[2:3], v[10:11]
	v_fma_f64 v[128:129], v[12:13], s[12:13], v[14:15]
	;; [unrolled: 1-line block ×3, first 2 shown]
	s_delay_alu instid0(VALU_DEP_3)
	v_fma_f64 v[134:135], v[4:5], s[12:13], v[10:11]
	ds_load_b128 v[0:3], v252 offset:1632
	ds_load_b128 v[16:19], v252 offset:544
	;; [unrolled: 1-line block ×5, first 2 shown]
	scratch_load_b32 v136, off, off offset:1296 th:TH_LOAD_LU ; 4-byte Folded Reload
	s_wait_loadcnt 0x0
	ds_store_b128 v136, v[24:27] offset:1904
	ds_store_b128 v136, v[32:35] offset:3808
	;; [unrolled: 1-line block ×9, first 2 shown]
	v_add_f64_e64 v[20:21], v[52:53], -v[58:59]
	v_add_f64_e64 v[22:23], v[56:57], -v[64:65]
	v_add_f64_e64 v[32:33], v[54:55], -v[60:61]
	v_add_f64_e64 v[116:117], v[52:53], -v[56:57]
	v_add_f64_e64 v[34:35], v[62:63], -v[66:67]
	v_add_f64_e64 v[118:119], v[58:59], -v[64:65]
	v_add_f64_e64 v[124:125], v[66:67], -v[60:61]
	v_add_f64_e32 v[24:25], v[20:21], v[22:23]
	v_add_f64_e64 v[20:21], v[54:55], -v[62:63]
	v_add_f64_e64 v[22:23], v[60:61], -v[66:67]
	s_delay_alu instid0(VALU_DEP_1) | instskip(SKIP_2) | instid1(VALU_DEP_1)
	v_add_f64_e32 v[26:27], v[20:21], v[22:23]
	v_add_f64_e32 v[20:21], v[58:59], v[64:65]
	s_wait_dscnt 0xb
	v_fma_f64 v[28:29], v[20:21], -0.5, v[12:13]
	v_add_f64_e32 v[20:21], v[62:63], v[66:67]
	s_delay_alu instid0(VALU_DEP_1) | instskip(NEXT) | instid1(VALU_DEP_3)
	v_fma_f64 v[30:31], v[20:21], -0.5, v[14:15]
	v_fma_f64 v[20:21], v[32:33], s[14:15], v[28:29]
	v_fma_f64 v[28:29], v[32:33], s[10:11], v[28:29]
	s_delay_alu instid0(VALU_DEP_3) | instskip(SKIP_1) | instid1(VALU_DEP_4)
	v_fma_f64 v[22:23], v[116:117], s[10:11], v[30:31]
	v_fma_f64 v[30:31], v[116:117], s[14:15], v[30:31]
	;; [unrolled: 1-line block ×3, first 2 shown]
	s_delay_alu instid0(VALU_DEP_4) | instskip(NEXT) | instid1(VALU_DEP_4)
	v_fma_f64 v[28:29], v[34:35], s[8:9], v[28:29]
	v_fma_f64 v[22:23], v[118:119], s[8:9], v[22:23]
	s_delay_alu instid0(VALU_DEP_4) | instskip(NEXT) | instid1(VALU_DEP_4)
	v_fma_f64 v[30:31], v[118:119], s[2:3], v[30:31]
	v_fma_f64 v[20:21], v[24:25], s[12:13], v[20:21]
	s_delay_alu instid0(VALU_DEP_4) | instskip(SKIP_4) | instid1(VALU_DEP_1)
	v_fma_f64 v[24:25], v[24:25], s[12:13], v[28:29]
	v_add_f64_e64 v[28:29], v[58:59], -v[52:53]
	v_fma_f64 v[22:23], v[26:27], s[12:13], v[22:23]
	v_fma_f64 v[26:27], v[26:27], s[12:13], v[30:31]
	v_add_f64_e64 v[30:31], v[64:65], -v[56:57]
	v_add_f64_e32 v[120:121], v[28:29], v[30:31]
	v_add_f64_e32 v[28:29], v[52:53], v[56:57]
	s_delay_alu instid0(VALU_DEP_1) | instskip(NEXT) | instid1(VALU_DEP_1)
	v_fma_f64 v[28:29], v[28:29], -0.5, v[12:13]
	v_fma_f64 v[30:31], v[34:35], s[10:11], v[28:29]
	v_fma_f64 v[28:29], v[34:35], s[14:15], v[28:29]
	v_add_f64_e32 v[34:35], v[54:55], v[60:61]
	s_delay_alu instid0(VALU_DEP_3) | instskip(NEXT) | instid1(VALU_DEP_3)
	v_fma_f64 v[30:31], v[32:33], s[2:3], v[30:31]
	v_fma_f64 v[32:33], v[32:33], s[8:9], v[28:29]
	s_delay_alu instid0(VALU_DEP_3) | instskip(NEXT) | instid1(VALU_DEP_3)
	v_fma_f64 v[34:35], v[34:35], -0.5, v[14:15]
	v_fma_f64 v[28:29], v[120:121], s[12:13], v[30:31]
	s_delay_alu instid0(VALU_DEP_3) | instskip(NEXT) | instid1(VALU_DEP_3)
	v_fma_f64 v[32:33], v[120:121], s[12:13], v[32:33]
	v_fma_f64 v[122:123], v[118:119], s[14:15], v[34:35]
	;; [unrolled: 1-line block ×3, first 2 shown]
	v_add_f64_e64 v[118:119], v[62:63], -v[54:55]
	s_delay_alu instid0(VALU_DEP_3) | instskip(NEXT) | instid1(VALU_DEP_3)
	v_fma_f64 v[122:123], v[116:117], s[8:9], v[122:123]
	v_fma_f64 v[34:35], v[116:117], s[2:3], v[34:35]
	s_delay_alu instid0(VALU_DEP_3) | instskip(SKIP_2) | instid1(VALU_DEP_3)
	v_add_f64_e32 v[118:119], v[118:119], v[124:125]
	v_add_nc_u32_e32 v116, 0x330, v252
	v_add_f64_e64 v[124:125], v[82:83], -v[76:77]
	v_fma_f64 v[30:31], v[118:119], s[12:13], v[122:123]
	v_fma_f64 v[34:35], v[118:119], s[12:13], v[34:35]
	ds_store_b128 v116, v[28:31] offset:1904
	ds_store_b128 v116, v[20:23] offset:3808
	;; [unrolled: 1-line block ×4, first 2 shown]
	v_add_f64_e64 v[20:21], v[68:69], -v[74:75]
	v_add_f64_e64 v[22:23], v[72:73], -v[80:81]
	;; [unrolled: 1-line block ×6, first 2 shown]
	v_add_f64_e32 v[24:25], v[20:21], v[22:23]
	v_add_f64_e64 v[20:21], v[70:71], -v[78:79]
	v_add_f64_e64 v[22:23], v[76:77], -v[82:83]
	s_delay_alu instid0(VALU_DEP_1) | instskip(SKIP_2) | instid1(VALU_DEP_1)
	v_add_f64_e32 v[26:27], v[20:21], v[22:23]
	v_add_f64_e32 v[20:21], v[74:75], v[80:81]
	s_wait_dscnt 0xe
	v_fma_f64 v[28:29], v[20:21], -0.5, v[8:9]
	v_add_f64_e32 v[20:21], v[78:79], v[82:83]
	s_delay_alu instid0(VALU_DEP_1) | instskip(NEXT) | instid1(VALU_DEP_3)
	v_fma_f64 v[30:31], v[20:21], -0.5, v[10:11]
	v_fma_f64 v[20:21], v[32:33], s[14:15], v[28:29]
	v_fma_f64 v[28:29], v[32:33], s[10:11], v[28:29]
	s_delay_alu instid0(VALU_DEP_3) | instskip(SKIP_1) | instid1(VALU_DEP_4)
	v_fma_f64 v[22:23], v[116:117], s[10:11], v[30:31]
	v_fma_f64 v[30:31], v[116:117], s[14:15], v[30:31]
	;; [unrolled: 1-line block ×3, first 2 shown]
	s_delay_alu instid0(VALU_DEP_4) | instskip(NEXT) | instid1(VALU_DEP_4)
	v_fma_f64 v[28:29], v[34:35], s[8:9], v[28:29]
	v_fma_f64 v[22:23], v[118:119], s[8:9], v[22:23]
	s_delay_alu instid0(VALU_DEP_4) | instskip(NEXT) | instid1(VALU_DEP_4)
	v_fma_f64 v[30:31], v[118:119], s[2:3], v[30:31]
	v_fma_f64 v[20:21], v[24:25], s[12:13], v[20:21]
	s_delay_alu instid0(VALU_DEP_4) | instskip(SKIP_4) | instid1(VALU_DEP_1)
	v_fma_f64 v[24:25], v[24:25], s[12:13], v[28:29]
	v_add_f64_e64 v[28:29], v[74:75], -v[68:69]
	v_fma_f64 v[22:23], v[26:27], s[12:13], v[22:23]
	v_fma_f64 v[26:27], v[26:27], s[12:13], v[30:31]
	v_add_f64_e64 v[30:31], v[80:81], -v[72:73]
	v_add_f64_e32 v[120:121], v[28:29], v[30:31]
	v_add_f64_e32 v[28:29], v[68:69], v[72:73]
	s_delay_alu instid0(VALU_DEP_1) | instskip(NEXT) | instid1(VALU_DEP_1)
	v_fma_f64 v[28:29], v[28:29], -0.5, v[8:9]
	v_fma_f64 v[30:31], v[34:35], s[10:11], v[28:29]
	v_fma_f64 v[28:29], v[34:35], s[14:15], v[28:29]
	v_add_f64_e32 v[34:35], v[70:71], v[76:77]
	s_delay_alu instid0(VALU_DEP_3) | instskip(NEXT) | instid1(VALU_DEP_3)
	v_fma_f64 v[30:31], v[32:33], s[2:3], v[30:31]
	v_fma_f64 v[32:33], v[32:33], s[8:9], v[28:29]
	s_delay_alu instid0(VALU_DEP_3) | instskip(NEXT) | instid1(VALU_DEP_3)
	v_fma_f64 v[34:35], v[34:35], -0.5, v[10:11]
	v_fma_f64 v[28:29], v[120:121], s[12:13], v[30:31]
	s_delay_alu instid0(VALU_DEP_3) | instskip(NEXT) | instid1(VALU_DEP_3)
	v_fma_f64 v[32:33], v[120:121], s[12:13], v[32:33]
	v_fma_f64 v[122:123], v[118:119], s[14:15], v[34:35]
	;; [unrolled: 1-line block ×3, first 2 shown]
	v_add_f64_e64 v[118:119], v[78:79], -v[70:71]
	s_delay_alu instid0(VALU_DEP_3) | instskip(NEXT) | instid1(VALU_DEP_3)
	v_fma_f64 v[122:123], v[116:117], s[8:9], v[122:123]
	v_fma_f64 v[34:35], v[116:117], s[2:3], v[34:35]
	s_delay_alu instid0(VALU_DEP_3) | instskip(SKIP_2) | instid1(VALU_DEP_3)
	v_add_f64_e32 v[118:119], v[118:119], v[124:125]
	v_add_f64_e64 v[116:117], v[40:41], -v[44:45]
	v_add_f64_e64 v[124:125], v[50:51], -v[46:47]
	v_fma_f64 v[30:31], v[118:119], s[12:13], v[122:123]
	v_fma_f64 v[34:35], v[118:119], s[12:13], v[34:35]
	ds_store_b128 v232, v[28:31] offset:1904
	ds_store_b128 v232, v[20:23] offset:3808
	ds_store_b128 v232, v[24:27] offset:5712
	ds_store_b128 v232, v[32:35] offset:7616
	v_add_f64_e64 v[20:21], v[40:41], -v[36:37]
	v_add_f64_e64 v[22:23], v[44:45], -v[48:49]
	;; [unrolled: 1-line block ×5, first 2 shown]
	s_delay_alu instid0(VALU_DEP_4) | instskip(SKIP_2) | instid1(VALU_DEP_1)
	v_add_f64_e32 v[24:25], v[20:21], v[22:23]
	v_add_f64_e64 v[20:21], v[42:43], -v[38:39]
	v_add_f64_e64 v[22:23], v[46:47], -v[50:51]
	v_add_f64_e32 v[26:27], v[20:21], v[22:23]
	v_add_f64_e32 v[20:21], v[36:37], v[48:49]
	s_delay_alu instid0(VALU_DEP_1) | instskip(SKIP_1) | instid1(VALU_DEP_1)
	v_fma_f64 v[28:29], v[20:21], -0.5, v[16:17]
	v_add_f64_e32 v[20:21], v[38:39], v[50:51]
	v_fma_f64 v[30:31], v[20:21], -0.5, v[18:19]
	s_delay_alu instid0(VALU_DEP_3) | instskip(SKIP_1) | instid1(VALU_DEP_3)
	v_fma_f64 v[20:21], v[32:33], s[14:15], v[28:29]
	v_fma_f64 v[28:29], v[32:33], s[10:11], v[28:29]
	;; [unrolled: 1-line block ×4, first 2 shown]
	s_delay_alu instid0(VALU_DEP_4) | instskip(NEXT) | instid1(VALU_DEP_4)
	v_fma_f64 v[20:21], v[34:35], s[2:3], v[20:21]
	v_fma_f64 v[28:29], v[34:35], s[8:9], v[28:29]
	s_delay_alu instid0(VALU_DEP_4) | instskip(NEXT) | instid1(VALU_DEP_4)
	v_fma_f64 v[22:23], v[118:119], s[8:9], v[22:23]
	v_fma_f64 v[30:31], v[118:119], s[2:3], v[30:31]
	;; [unrolled: 3-line block ×3, first 2 shown]
	v_add_f64_e64 v[28:29], v[36:37], -v[40:41]
	v_fma_f64 v[22:23], v[26:27], s[12:13], v[22:23]
	v_fma_f64 v[26:27], v[26:27], s[12:13], v[30:31]
	v_add_f64_e64 v[30:31], v[48:49], -v[44:45]
	s_delay_alu instid0(VALU_DEP_1) | instskip(SKIP_1) | instid1(VALU_DEP_1)
	v_add_f64_e32 v[120:121], v[28:29], v[30:31]
	v_add_f64_e32 v[28:29], v[40:41], v[44:45]
	v_fma_f64 v[28:29], v[28:29], -0.5, v[16:17]
	v_add_f64_e32 v[16:17], v[16:17], v[36:37]
	s_delay_alu instid0(VALU_DEP_2) | instskip(SKIP_2) | instid1(VALU_DEP_2)
	v_fma_f64 v[30:31], v[34:35], s[10:11], v[28:29]
	v_fma_f64 v[28:29], v[34:35], s[14:15], v[28:29]
	v_add_f64_e32 v[34:35], v[42:43], v[46:47]
	v_fma_f64 v[28:29], v[32:33], s[8:9], v[28:29]
	s_delay_alu instid0(VALU_DEP_2) | instskip(SKIP_1) | instid1(VALU_DEP_3)
	v_fma_f64 v[34:35], v[34:35], -0.5, v[18:19]
	v_add_f64_e32 v[18:19], v[18:19], v[38:39]
	v_fma_f64 v[28:29], v[120:121], s[12:13], v[28:29]
	s_delay_alu instid0(VALU_DEP_3) | instskip(SKIP_2) | instid1(VALU_DEP_1)
	v_fma_f64 v[122:123], v[118:119], s[14:15], v[34:35]
	v_fma_f64 v[34:35], v[118:119], s[10:11], v[34:35]
	v_add_f64_e64 v[118:119], v[38:39], -v[42:43]
	v_add_f64_e32 v[118:119], v[118:119], v[124:125]
	v_fma_f64 v[124:125], v[32:33], s[2:3], v[30:31]
	s_delay_alu instid0(VALU_DEP_4) | instskip(SKIP_2) | instid1(VALU_DEP_4)
	v_fma_f64 v[30:31], v[116:117], s[2:3], v[34:35]
	v_fma_f64 v[34:35], v[116:117], s[8:9], v[122:123]
	v_add_f64_e64 v[116:117], v[84:85], -v[88:89]
	v_fma_f64 v[32:33], v[120:121], s[12:13], v[124:125]
	s_delay_alu instid0(VALU_DEP_4) | instskip(NEXT) | instid1(VALU_DEP_4)
	v_fma_f64 v[30:31], v[118:119], s[12:13], v[30:31]
	v_fma_f64 v[34:35], v[118:119], s[12:13], v[34:35]
	ds_store_b128 v251, v[20:23] offset:3808
	ds_store_b128 v251, v[24:27] offset:5712
	;; [unrolled: 1-line block ×4, first 2 shown]
	v_add_f64_e64 v[20:21], v[84:85], -v[90:91]
	v_add_f64_e64 v[22:23], v[88:89], -v[96:97]
	v_add_f64_e64 v[32:33], v[86:87], -v[92:93]
	v_add_f64_e64 v[34:35], v[94:95], -v[98:99]
	v_add_f64_e64 v[118:119], v[90:91], -v[96:97]
	v_add_f64_e64 v[124:125], v[98:99], -v[92:93]
	v_add_f64_e32 v[24:25], v[20:21], v[22:23]
	v_add_f64_e64 v[20:21], v[86:87], -v[94:95]
	v_add_f64_e64 v[22:23], v[92:93], -v[98:99]
	s_delay_alu instid0(VALU_DEP_1) | instskip(SKIP_2) | instid1(VALU_DEP_1)
	v_add_f64_e32 v[26:27], v[20:21], v[22:23]
	v_add_f64_e32 v[20:21], v[90:91], v[96:97]
	s_wait_dscnt 0x15
	v_fma_f64 v[28:29], v[20:21], -0.5, v[4:5]
	v_add_f64_e32 v[20:21], v[94:95], v[98:99]
	s_delay_alu instid0(VALU_DEP_1) | instskip(NEXT) | instid1(VALU_DEP_3)
	v_fma_f64 v[30:31], v[20:21], -0.5, v[6:7]
	v_fma_f64 v[20:21], v[32:33], s[14:15], v[28:29]
	v_fma_f64 v[28:29], v[32:33], s[10:11], v[28:29]
	s_delay_alu instid0(VALU_DEP_3) | instskip(SKIP_1) | instid1(VALU_DEP_4)
	v_fma_f64 v[22:23], v[116:117], s[10:11], v[30:31]
	v_fma_f64 v[30:31], v[116:117], s[14:15], v[30:31]
	;; [unrolled: 1-line block ×3, first 2 shown]
	s_delay_alu instid0(VALU_DEP_4) | instskip(NEXT) | instid1(VALU_DEP_4)
	v_fma_f64 v[28:29], v[34:35], s[8:9], v[28:29]
	v_fma_f64 v[22:23], v[118:119], s[8:9], v[22:23]
	s_delay_alu instid0(VALU_DEP_4) | instskip(NEXT) | instid1(VALU_DEP_4)
	v_fma_f64 v[30:31], v[118:119], s[2:3], v[30:31]
	v_fma_f64 v[20:21], v[24:25], s[12:13], v[20:21]
	s_delay_alu instid0(VALU_DEP_4) | instskip(SKIP_4) | instid1(VALU_DEP_1)
	v_fma_f64 v[24:25], v[24:25], s[12:13], v[28:29]
	v_add_f64_e64 v[28:29], v[90:91], -v[84:85]
	v_fma_f64 v[22:23], v[26:27], s[12:13], v[22:23]
	v_fma_f64 v[26:27], v[26:27], s[12:13], v[30:31]
	v_add_f64_e64 v[30:31], v[96:97], -v[88:89]
	v_add_f64_e32 v[120:121], v[28:29], v[30:31]
	v_add_f64_e32 v[28:29], v[84:85], v[88:89]
	s_delay_alu instid0(VALU_DEP_1) | instskip(NEXT) | instid1(VALU_DEP_1)
	v_fma_f64 v[28:29], v[28:29], -0.5, v[4:5]
	v_fma_f64 v[30:31], v[34:35], s[10:11], v[28:29]
	v_fma_f64 v[28:29], v[34:35], s[14:15], v[28:29]
	v_add_f64_e32 v[34:35], v[86:87], v[92:93]
	s_delay_alu instid0(VALU_DEP_3) | instskip(NEXT) | instid1(VALU_DEP_3)
	v_fma_f64 v[30:31], v[32:33], s[2:3], v[30:31]
	v_fma_f64 v[32:33], v[32:33], s[8:9], v[28:29]
	s_delay_alu instid0(VALU_DEP_3) | instskip(NEXT) | instid1(VALU_DEP_3)
	v_fma_f64 v[34:35], v[34:35], -0.5, v[6:7]
	v_fma_f64 v[28:29], v[120:121], s[12:13], v[30:31]
	s_delay_alu instid0(VALU_DEP_3) | instskip(NEXT) | instid1(VALU_DEP_3)
	v_fma_f64 v[32:33], v[120:121], s[12:13], v[32:33]
	v_fma_f64 v[122:123], v[118:119], s[14:15], v[34:35]
	;; [unrolled: 1-line block ×3, first 2 shown]
	v_add_f64_e64 v[118:119], v[94:95], -v[86:87]
	s_delay_alu instid0(VALU_DEP_3) | instskip(NEXT) | instid1(VALU_DEP_3)
	v_fma_f64 v[122:123], v[116:117], s[8:9], v[122:123]
	v_fma_f64 v[34:35], v[116:117], s[2:3], v[34:35]
	s_delay_alu instid0(VALU_DEP_3) | instskip(SKIP_1) | instid1(VALU_DEP_2)
	v_add_f64_e32 v[118:119], v[118:119], v[124:125]
	v_add_f64_e64 v[116:117], v[100:101], -v[106:107]
	v_fma_f64 v[30:31], v[118:119], s[12:13], v[122:123]
	s_delay_alu instid0(VALU_DEP_4)
	v_fma_f64 v[34:35], v[118:119], s[12:13], v[34:35]
	ds_store_b128 v231, v[28:31] offset:1904
	ds_store_b128 v231, v[20:23] offset:3808
	;; [unrolled: 1-line block ×4, first 2 shown]
	v_add_f64_e64 v[20:21], v[100:101], -v[104:105]
	v_add_f64_e64 v[22:23], v[106:107], -v[112:113]
	;; [unrolled: 1-line block ×6, first 2 shown]
	v_add_f64_e32 v[24:25], v[20:21], v[22:23]
	v_add_f64_e64 v[20:21], v[102:103], -v[108:109]
	v_add_f64_e64 v[22:23], v[110:111], -v[114:115]
	s_delay_alu instid0(VALU_DEP_1) | instskip(SKIP_2) | instid1(VALU_DEP_2)
	v_add_f64_e32 v[26:27], v[20:21], v[22:23]
	v_add_f64_e32 v[20:21], v[104:105], v[112:113]
	;; [unrolled: 1-line block ×3, first 2 shown]
	v_fma_f64 v[28:29], v[20:21], -0.5, v[0:1]
	s_delay_alu instid0(VALU_DEP_2) | instskip(NEXT) | instid1(VALU_DEP_2)
	v_fma_f64 v[34:35], v[22:23], -0.5, v[2:3]
	v_fma_f64 v[20:21], v[30:31], s[14:15], v[28:29]
	v_fma_f64 v[28:29], v[30:31], s[10:11], v[28:29]
	s_delay_alu instid0(VALU_DEP_3) | instskip(SKIP_1) | instid1(VALU_DEP_4)
	v_fma_f64 v[22:23], v[116:117], s[10:11], v[34:35]
	v_fma_f64 v[34:35], v[116:117], s[14:15], v[34:35]
	;; [unrolled: 1-line block ×3, first 2 shown]
	s_delay_alu instid0(VALU_DEP_4) | instskip(NEXT) | instid1(VALU_DEP_4)
	v_fma_f64 v[28:29], v[32:33], s[8:9], v[28:29]
	v_fma_f64 v[22:23], v[118:119], s[8:9], v[22:23]
	s_delay_alu instid0(VALU_DEP_4) | instskip(NEXT) | instid1(VALU_DEP_4)
	v_fma_f64 v[34:35], v[118:119], s[2:3], v[34:35]
	v_fma_f64 v[20:21], v[24:25], s[12:13], v[20:21]
	s_delay_alu instid0(VALU_DEP_4) | instskip(SKIP_3) | instid1(VALU_DEP_3)
	v_fma_f64 v[24:25], v[24:25], s[12:13], v[28:29]
	v_add_f64_e32 v[28:29], v[100:101], v[106:107]
	v_fma_f64 v[22:23], v[26:27], s[12:13], v[22:23]
	v_fma_f64 v[26:27], v[26:27], s[12:13], v[34:35]
	v_fma_f64 v[28:29], v[28:29], -0.5, v[0:1]
	s_delay_alu instid0(VALU_DEP_1) | instskip(SKIP_2) | instid1(VALU_DEP_3)
	v_fma_f64 v[34:35], v[32:33], s[10:11], v[28:29]
	v_fma_f64 v[28:29], v[32:33], s[14:15], v[28:29]
	v_add_f64_e32 v[32:33], v[102:103], v[110:111]
	v_fma_f64 v[34:35], v[30:31], s[2:3], v[34:35]
	s_delay_alu instid0(VALU_DEP_2) | instskip(NEXT) | instid1(VALU_DEP_1)
	v_fma_f64 v[32:33], v[32:33], -0.5, v[2:3]
	v_fma_f64 v[120:121], v[118:119], s[14:15], v[32:33]
	v_fma_f64 v[32:33], v[118:119], s[10:11], v[32:33]
	v_add_f64_e64 v[118:119], v[104:105], -v[100:101]
	s_delay_alu instid0(VALU_DEP_1) | instskip(SKIP_3) | instid1(VALU_DEP_1)
	v_add_f64_e32 v[118:119], v[118:119], v[122:123]
	v_fma_f64 v[122:123], v[30:31], s[8:9], v[28:29]
	v_add_f64_e64 v[28:29], v[108:109], -v[102:103]
	v_add_f64_e64 v[30:31], v[114:115], -v[110:111]
	v_add_f64_e32 v[124:125], v[28:29], v[30:31]
	v_fma_f64 v[30:31], v[116:117], s[8:9], v[120:121]
	v_fma_f64 v[116:117], v[116:117], s[2:3], v[32:33]
	;; [unrolled: 1-line block ×4, first 2 shown]
	s_mov_b32 s2, 0x1b89401c
	s_mov_b32 s3, 0x3f5b8940
	s_delay_alu instid0(VALU_DEP_4) | instskip(NEXT) | instid1(VALU_DEP_4)
	v_fma_f64 v[30:31], v[124:125], s[12:13], v[30:31]
	v_fma_f64 v[34:35], v[124:125], s[12:13], v[116:117]
	ds_store_b128 v230, v[28:31] offset:1904
	ds_store_b128 v230, v[20:23] offset:3808
	;; [unrolled: 1-line block ×4, first 2 shown]
	v_add_f64_e32 v[20:21], v[12:13], v[58:59]
	v_add_f64_e32 v[22:23], v[14:15], v[62:63]
	;; [unrolled: 1-line block ×36, first 2 shown]
	s_delay_alu instid0(VALU_DEP_4) | instskip(NEXT) | instid1(VALU_DEP_4)
	v_add_f64_e32 v[16:17], v[16:17], v[112:113]
	v_add_f64_e32 v[18:19], v[18:19], v[114:115]
	ds_store_b128 v252, v[12:15] offset:544
	ds_store_b128 v252, v[8:11] offset:816
	;; [unrolled: 1-line block ×5, first 2 shown]
	global_wb scope:SCOPE_SE
	s_wait_dscnt 0x0
	s_barrier_signal -1
	s_barrier_wait -1
	global_inv scope:SCOPE_SE
	s_clause 0x4
	scratch_load_b128 v[6:9], off, off offset:1036 th:TH_LOAD_LU
	scratch_load_b128 v[10:13], off, off offset:636 th:TH_LOAD_LU
	scratch_load_b128 v[22:25], off, off offset:620 th:TH_LOAD_LU
	scratch_load_b128 v[14:17], off, off offset:604 th:TH_LOAD_LU
	scratch_load_b128 v[18:21], off, off offset:588 th:TH_LOAD_LU
	ds_load_b128 v[0:3], v252
	s_clause 0x13
	scratch_load_b128 v[26:29], off, off offset:540 th:TH_LOAD_LU
	scratch_load_b128 v[38:41], off, off offset:524 th:TH_LOAD_LU
	;; [unrolled: 1-line block ×20, first 2 shown]
	s_wait_loadcnt_dscnt 0x1800
	v_mul_f64_e32 v[4:5], v[8:9], v[2:3]
	s_delay_alu instid0(VALU_DEP_1) | instskip(SKIP_1) | instid1(VALU_DEP_1)
	v_fma_f64 v[4:5], v[6:7], v[0:1], v[4:5]
	v_mul_f64_e32 v[0:1], v[8:9], v[0:1]
	v_fma_f64 v[6:7], v[6:7], v[2:3], -v[0:1]
	ds_load_b128 v[0:3], v252 offset:1360
	s_wait_loadcnt_dscnt 0x1700
	v_mul_f64_e32 v[8:9], v[12:13], v[2:3]
	s_delay_alu instid0(VALU_DEP_1) | instskip(SKIP_1) | instid1(VALU_DEP_1)
	v_fma_f64 v[8:9], v[10:11], v[0:1], v[8:9]
	v_mul_f64_e32 v[0:1], v[12:13], v[0:1]
	v_fma_f64 v[10:11], v[10:11], v[2:3], -v[0:1]
	ds_load_b128 v[0:3], v252 offset:2720
	;; [unrolled: 7-line block ×4, first 2 shown]
	s_wait_dscnt 0x0
	v_mul_f64_e32 v[20:21], v[24:25], v[2:3]
	s_delay_alu instid0(VALU_DEP_1) | instskip(SKIP_1) | instid1(VALU_DEP_1)
	v_fma_f64 v[20:21], v[22:23], v[0:1], v[20:21]
	v_mul_f64_e32 v[0:1], v[24:25], v[0:1]
	v_fma_f64 v[22:23], v[22:23], v[2:3], -v[0:1]
	ds_load_b128 v[0:3], v252 offset:6800
	s_wait_loadcnt_dscnt 0x1300
	v_mul_f64_e32 v[24:25], v[28:29], v[2:3]
	s_delay_alu instid0(VALU_DEP_1) | instskip(SKIP_1) | instid1(VALU_DEP_1)
	v_fma_f64 v[24:25], v[26:27], v[0:1], v[24:25]
	v_mul_f64_e32 v[0:1], v[28:29], v[0:1]
	v_fma_f64 v[26:27], v[26:27], v[2:3], -v[0:1]
	ds_load_b128 v[0:3], v252 offset:8160
	s_wait_loadcnt_dscnt 0x1100
	;; [unrolled: 7-line block ×3, first 2 shown]
	v_mul_f64_e32 v[32:33], v[36:37], v[2:3]
	s_delay_alu instid0(VALU_DEP_1) | instskip(SKIP_1) | instid1(VALU_DEP_1)
	v_fma_f64 v[32:33], v[34:35], v[0:1], v[32:33]
	v_mul_f64_e32 v[0:1], v[36:37], v[0:1]
	v_fma_f64 v[34:35], v[34:35], v[2:3], -v[0:1]
	ds_load_b128 v[0:3], v252 offset:1632
	s_wait_dscnt 0x0
	v_mul_f64_e32 v[36:37], v[40:41], v[2:3]
	s_delay_alu instid0(VALU_DEP_1) | instskip(SKIP_1) | instid1(VALU_DEP_1)
	v_fma_f64 v[36:37], v[38:39], v[0:1], v[36:37]
	v_mul_f64_e32 v[0:1], v[40:41], v[0:1]
	v_fma_f64 v[38:39], v[38:39], v[2:3], -v[0:1]
	ds_load_b128 v[0:3], v252 offset:2992
	s_wait_loadcnt_dscnt 0xf00
	v_mul_f64_e32 v[40:41], v[44:45], v[2:3]
	s_delay_alu instid0(VALU_DEP_1) | instskip(SKIP_1) | instid1(VALU_DEP_1)
	v_fma_f64 v[40:41], v[42:43], v[0:1], v[40:41]
	v_mul_f64_e32 v[0:1], v[44:45], v[0:1]
	v_fma_f64 v[42:43], v[42:43], v[2:3], -v[0:1]
	ds_load_b128 v[0:3], v252 offset:4352
	s_wait_loadcnt_dscnt 0xd00
	;; [unrolled: 7-line block ×8, first 2 shown]
	v_mul_f64_e32 v[68:69], v[72:73], v[2:3]
	s_delay_alu instid0(VALU_DEP_1) | instskip(SKIP_1) | instid1(VALU_DEP_1)
	v_fma_f64 v[68:69], v[70:71], v[0:1], v[68:69]
	v_mul_f64_e32 v[0:1], v[72:73], v[0:1]
	v_fma_f64 v[70:71], v[70:71], v[2:3], -v[0:1]
	ds_load_b128 v[0:3], v252 offset:4624
	s_wait_dscnt 0x0
	v_mul_f64_e32 v[72:73], v[76:77], v[2:3]
	s_delay_alu instid0(VALU_DEP_1) | instskip(SKIP_1) | instid1(VALU_DEP_1)
	v_fma_f64 v[72:73], v[74:75], v[0:1], v[72:73]
	v_mul_f64_e32 v[0:1], v[76:77], v[0:1]
	v_fma_f64 v[74:75], v[74:75], v[2:3], -v[0:1]
	ds_load_b128 v[0:3], v252 offset:5984
	s_wait_dscnt 0x0
	v_mul_f64_e32 v[76:77], v[80:81], v[2:3]
	s_delay_alu instid0(VALU_DEP_1) | instskip(SKIP_1) | instid1(VALU_DEP_1)
	v_fma_f64 v[76:77], v[78:79], v[0:1], v[76:77]
	v_mul_f64_e32 v[0:1], v[80:81], v[0:1]
	v_fma_f64 v[78:79], v[78:79], v[2:3], -v[0:1]
	ds_load_b128 v[0:3], v252 offset:7344
	s_wait_dscnt 0x0
	v_mul_f64_e32 v[80:81], v[84:85], v[2:3]
	s_delay_alu instid0(VALU_DEP_1) | instskip(SKIP_1) | instid1(VALU_DEP_1)
	v_fma_f64 v[80:81], v[82:83], v[0:1], v[80:81]
	v_mul_f64_e32 v[0:1], v[84:85], v[0:1]
	v_fma_f64 v[82:83], v[82:83], v[2:3], -v[0:1]
	ds_load_b128 v[0:3], v252 offset:8704
	s_wait_dscnt 0x0
	v_mul_f64_e32 v[84:85], v[88:89], v[2:3]
	s_delay_alu instid0(VALU_DEP_1) | instskip(SKIP_1) | instid1(VALU_DEP_1)
	v_fma_f64 v[84:85], v[86:87], v[0:1], v[84:85]
	v_mul_f64_e32 v[0:1], v[88:89], v[0:1]
	v_fma_f64 v[86:87], v[86:87], v[2:3], -v[0:1]
	ds_load_b128 v[0:3], v252 offset:816
	s_wait_loadcnt_dscnt 0x300
	v_mul_f64_e32 v[88:89], v[92:93], v[2:3]
	s_delay_alu instid0(VALU_DEP_1) | instskip(SKIP_1) | instid1(VALU_DEP_1)
	v_fma_f64 v[88:89], v[90:91], v[0:1], v[88:89]
	v_mul_f64_e32 v[0:1], v[92:93], v[0:1]
	v_fma_f64 v[90:91], v[90:91], v[2:3], -v[0:1]
	ds_load_b128 v[0:3], v252 offset:2176
	s_wait_loadcnt_dscnt 0x100
	v_mul_f64_e32 v[92:93], v[96:97], v[2:3]
	s_delay_alu instid0(VALU_DEP_1) | instskip(SKIP_1) | instid1(VALU_DEP_1)
	v_fma_f64 v[92:93], v[94:95], v[0:1], v[92:93]
	v_mul_f64_e32 v[0:1], v[96:97], v[0:1]
	v_fma_f64 v[94:95], v[94:95], v[2:3], -v[0:1]
	ds_load_b128 v[0:3], v252 offset:3536
	s_wait_dscnt 0x0
	v_mul_f64_e32 v[96:97], v[100:101], v[2:3]
	s_delay_alu instid0(VALU_DEP_1) | instskip(SKIP_1) | instid1(VALU_DEP_1)
	v_fma_f64 v[96:97], v[98:99], v[0:1], v[96:97]
	v_mul_f64_e32 v[0:1], v[100:101], v[0:1]
	v_fma_f64 v[98:99], v[98:99], v[2:3], -v[0:1]
	ds_load_b128 v[0:3], v252 offset:4896
	s_wait_loadcnt_dscnt 0x0
	v_mul_f64_e32 v[100:101], v[104:105], v[2:3]
	s_delay_alu instid0(VALU_DEP_1) | instskip(SKIP_1) | instid1(VALU_DEP_1)
	v_fma_f64 v[100:101], v[102:103], v[0:1], v[100:101]
	v_mul_f64_e32 v[0:1], v[104:105], v[0:1]
	v_fma_f64 v[102:103], v[102:103], v[2:3], -v[0:1]
	scratch_load_b64 v[0:1], off, off offset:480 th:TH_LOAD_LU ; 8-byte Folded Reload
	s_wait_alu 0xfffe
	v_mul_f64_e32 v[2:3], s[2:3], v[6:7]
	scratch_load_b32 v6, off, off th:TH_LOAD_LU ; 4-byte Folded Reload
	s_wait_loadcnt 0x1
	v_mov_b32_e32 v1, v0
	s_delay_alu instid0(VALU_DEP_1) | instskip(NEXT) | instid1(VALU_DEP_1)
	v_mad_co_u64_u32 v[104:105], null, s6, v1, 0
	v_mov_b32_e32 v0, v105
	s_delay_alu instid0(VALU_DEP_1)
	v_mad_co_u64_u32 v[105:106], null, s7, v1, v[0:1]
	v_mul_f64_e32 v[0:1], s[2:3], v[4:5]
	s_wait_loadcnt 0x0
	v_mad_co_u64_u32 v[4:5], null, s4, v6, 0
	s_movk_i32 s6, 0xe130
	s_mov_b32 s7, -1
	s_wait_alu 0xfffe
	s_mul_u64 s[6:7], s[4:5], s[6:7]
	s_delay_alu instid0(VALU_DEP_1) | instskip(SKIP_1) | instid1(VALU_DEP_2)
	v_mad_co_u64_u32 v[5:6], null, s5, v6, v[5:6]
	v_lshlrev_b64_e32 v[6:7], 4, v[104:105]
	v_lshlrev_b64_e32 v[4:5], 4, v[4:5]
	s_delay_alu instid0(VALU_DEP_2) | instskip(SKIP_1) | instid1(VALU_DEP_3)
	v_add_co_u32 v104, vcc_lo, s0, v6
	s_wait_alu 0xfffd
	v_add_co_ci_u32_e32 v105, vcc_lo, s1, v7, vcc_lo
	s_mul_u64 s[0:1], s[4:5], 0x550
	s_delay_alu instid0(VALU_DEP_2) | instskip(SKIP_1) | instid1(VALU_DEP_2)
	v_add_co_u32 v4, vcc_lo, v104, v4
	s_wait_alu 0xfffd
	v_add_co_ci_u32_e32 v5, vcc_lo, v105, v5, vcc_lo
	v_mul_f64_e32 v[6:7], s[2:3], v[50:51]
	global_store_b128 v[4:5], v[0:3], off
	v_mul_f64_e32 v[0:1], s[2:3], v[8:9]
	v_mul_f64_e32 v[2:3], s[2:3], v[10:11]
	s_wait_alu 0xfffe
	v_add_co_u32 v4, vcc_lo, v4, s0
	s_wait_alu 0xfffd
	v_add_co_ci_u32_e32 v5, vcc_lo, s1, v5, vcc_lo
	v_mul_f64_e32 v[8:9], s[2:3], v[52:53]
	v_mul_f64_e32 v[10:11], s[2:3], v[54:55]
	scratch_load_b128 v[50:53], off, off offset:716 th:TH_LOAD_LU ; 16-byte Folded Reload
	global_store_b128 v[4:5], v[0:3], off
	v_mul_f64_e32 v[0:1], s[2:3], v[12:13]
	v_mul_f64_e32 v[2:3], s[2:3], v[14:15]
	v_add_co_u32 v4, vcc_lo, v4, s0
	s_wait_alu 0xfffd
	v_add_co_ci_u32_e32 v5, vcc_lo, s1, v5, vcc_lo
	v_mul_f64_e32 v[14:15], s[2:3], v[58:59]
	global_store_b128 v[4:5], v[0:3], off
	v_mul_f64_e32 v[0:1], s[2:3], v[16:17]
	v_mul_f64_e32 v[2:3], s[2:3], v[18:19]
	v_add_co_u32 v4, vcc_lo, v4, s0
	s_wait_alu 0xfffd
	v_add_co_ci_u32_e32 v5, vcc_lo, s1, v5, vcc_lo
	v_mul_f64_e32 v[16:17], s[2:3], v[60:61]
	v_mul_f64_e32 v[18:19], s[2:3], v[62:63]
	global_store_b128 v[4:5], v[0:3], off
	v_mul_f64_e32 v[0:1], s[2:3], v[20:21]
	v_mul_f64_e32 v[2:3], s[2:3], v[22:23]
	v_add_co_u32 v4, vcc_lo, v4, s0
	s_wait_alu 0xfffd
	v_add_co_ci_u32_e32 v5, vcc_lo, s1, v5, vcc_lo
	v_mul_f64_e32 v[22:23], s[2:3], v[66:67]
	global_store_b128 v[4:5], v[0:3], off
	v_mul_f64_e32 v[0:1], s[2:3], v[24:25]
	v_mul_f64_e32 v[2:3], s[2:3], v[26:27]
	v_add_co_u32 v4, vcc_lo, v4, s0
	s_wait_alu 0xfffd
	v_add_co_ci_u32_e32 v5, vcc_lo, s1, v5, vcc_lo
	global_store_b128 v[4:5], v[0:3], off
	v_mul_f64_e32 v[0:1], s[2:3], v[28:29]
	v_mul_f64_e32 v[2:3], s[2:3], v[30:31]
	v_add_co_u32 v4, vcc_lo, v4, s0
	s_wait_alu 0xfffd
	v_add_co_ci_u32_e32 v5, vcc_lo, s1, v5, vcc_lo
	;; [unrolled: 6-line block ×3, first 2 shown]
	v_mul_f64_e32 v[32:33], s[2:3], v[80:81]
	v_mul_f64_e32 v[34:35], s[2:3], v[82:83]
	global_store_b128 v[4:5], v[0:3], off
	v_mul_f64_e32 v[0:1], s[2:3], v[36:37]
	v_mul_f64_e32 v[2:3], s[2:3], v[38:39]
	v_add_co_u32 v4, vcc_lo, v4, s0
	s_wait_alu 0xfffd
	v_add_co_ci_u32_e32 v5, vcc_lo, s1, v5, vcc_lo
	s_delay_alu instid0(VALU_DEP_2) | instskip(SKIP_1) | instid1(VALU_DEP_2)
	v_add_co_u32 v12, vcc_lo, v4, s0
	s_wait_alu 0xfffd
	v_add_co_ci_u32_e32 v13, vcc_lo, s1, v5, vcc_lo
	s_delay_alu instid0(VALU_DEP_2) | instskip(SKIP_1) | instid1(VALU_DEP_2)
	;; [unrolled: 4-line block ×6, first 2 shown]
	v_add_co_u32 v30, vcc_lo, v28, s6
	s_wait_alu 0xfffd
	v_add_co_ci_u32_e32 v31, vcc_lo, s7, v29, vcc_lo
	global_store_b128 v[4:5], v[0:3], off
	v_mul_f64_e32 v[0:1], s[2:3], v[40:41]
	v_mul_f64_e32 v[2:3], s[2:3], v[42:43]
	;; [unrolled: 1-line block ×3, first 2 shown]
	v_add_co_u32 v40, vcc_lo, v30, s0
	s_wait_alu 0xfffd
	v_add_co_ci_u32_e32 v41, vcc_lo, s1, v31, vcc_lo
	s_delay_alu instid0(VALU_DEP_2) | instskip(SKIP_1) | instid1(VALU_DEP_2)
	v_add_co_u32 v42, vcc_lo, v40, s0
	s_wait_alu 0xfffd
	v_add_co_ci_u32_e32 v43, vcc_lo, s1, v41, vcc_lo
	global_store_b128 v[12:13], v[0:3], off
	v_mul_f64_e32 v[0:1], s[2:3], v[44:45]
	v_mul_f64_e32 v[2:3], s[2:3], v[46:47]
	;; [unrolled: 1-line block ×3, first 2 shown]
	global_store_b128 v[20:21], v[0:3], off
	v_mul_f64_e32 v[20:21], s[2:3], v[64:65]
	global_store_b128 v[24:25], v[4:7], off
	v_mul_f64_e32 v[4:5], s[2:3], v[68:69]
	scratch_load_b128 v[66:69], off, off offset:652 th:TH_LOAD_LU ; 16-byte Folded Reload
	global_store_b128 v[26:27], v[8:11], off
	global_store_b128 v[28:29], v[12:15], off
	;; [unrolled: 1-line block ×3, first 2 shown]
	ds_load_b128 v[0:3], v252 offset:6256
	ds_load_b128 v[24:27], v252 offset:7616
	v_mul_f64_e32 v[6:7], s[2:3], v[70:71]
	v_mul_f64_e32 v[28:29], s[2:3], v[76:77]
	;; [unrolled: 1-line block ×3, first 2 shown]
	scratch_load_b128 v[76:79], off, off offset:732 th:TH_LOAD_LU ; 16-byte Folded Reload
	v_mul_f64_e32 v[8:9], s[2:3], v[72:73]
	v_mul_f64_e32 v[10:11], s[2:3], v[74:75]
	scratch_load_b128 v[70:73], off, off offset:748 th:TH_LOAD_LU ; 16-byte Folded Reload
	ds_load_b128 v[12:15], v252 offset:1088
	ds_load_b128 v[16:19], v252 offset:8976
	s_wait_loadcnt_dscnt 0x303
	v_mul_f64_e32 v[36:37], v[52:53], v[2:3]
	v_mul_f64_e32 v[38:39], v[52:53], v[0:1]
	global_store_b128 v[40:41], v[20:23], off
	scratch_load_b32 v23, off, off offset:488 th:TH_LOAD_LU ; 4-byte Folded Reload
	v_add_co_u32 v20, vcc_lo, v42, s0
	s_wait_alu 0xfffd
	v_add_co_ci_u32_e32 v21, vcc_lo, s1, v43, vcc_lo
	s_delay_alu instid0(VALU_DEP_2)
	v_add_co_u32 v22, vcc_lo, v20, s0
	global_store_b128 v[42:43], v[4:7], off
	v_mul_f64_e32 v[6:7], s[2:3], v[86:87]
	v_mul_f64_e32 v[42:43], s[2:3], v[94:95]
	global_store_b128 v[20:21], v[8:11], off
	ds_load_b128 v[8:11], v252 offset:3808
	v_fma_f64 v[48:49], v[50:51], v[0:1], v[36:37]
	v_fma_f64 v[50:51], v[50:51], v[2:3], -v[38:39]
	ds_load_b128 v[0:3], v252 offset:2448
	s_wait_loadcnt_dscnt 0x304
	v_mul_f64_e32 v[40:41], v[68:69], v[26:27]
	v_mul_f64_e32 v[44:45], v[68:69], v[24:25]
	s_wait_loadcnt_dscnt 0x203
	v_mul_f64_e32 v[56:57], v[78:79], v[14:15]
	v_mul_f64_e32 v[58:59], v[78:79], v[12:13]
	s_wait_loadcnt 0x0
	v_mad_co_u64_u32 v[46:47], null, s4, v23, 0
	v_fma_f64 v[64:65], v[66:67], v[24:25], v[40:41]
	v_fma_f64 v[66:67], v[66:67], v[26:27], -v[44:45]
	v_mul_f64_e32 v[40:41], s[2:3], v[92:93]
	v_mul_f64_e32 v[44:45], s[2:3], v[96:97]
	v_mov_b32_e32 v4, v47
	v_fma_f64 v[56:57], v[76:77], v[12:13], v[56:57]
	v_fma_f64 v[58:59], v[76:77], v[14:15], -v[58:59]
	s_delay_alu instid0(VALU_DEP_3)
	v_mad_co_u64_u32 v[36:37], null, s5, v23, v[4:5]
	s_wait_alu 0xfffd
	v_add_co_ci_u32_e32 v23, vcc_lo, s1, v21, vcc_lo
	v_add_co_u32 v60, vcc_lo, v22, s0
	v_mul_f64_e32 v[4:5], s[2:3], v[84:85]
	s_wait_alu 0xfffd
	s_delay_alu instid0(VALU_DEP_3)
	v_add_co_ci_u32_e32 v61, vcc_lo, s1, v23, vcc_lo
	global_store_b128 v[22:23], v[28:31], off
	v_mov_b32_e32 v47, v36
	ds_load_b128 v[20:23], v252 offset:5168
	global_store_b128 v[60:61], v[32:35], off
	ds_load_b128 v[28:31], v252 offset:6528
	ds_load_b128 v[24:27], v252 offset:7888
	;; [unrolled: 1-line block ×3, first 2 shown]
	scratch_load_b128 v[80:83], off, off offset:668 th:TH_LOAD_LU ; 16-byte Folded Reload
	s_wait_dscnt 0x6
	v_mul_f64_e32 v[52:53], v[72:73], v[18:19]
	v_mul_f64_e32 v[54:55], v[72:73], v[16:17]
	;; [unrolled: 1-line block ×4, first 2 shown]
	v_lshlrev_b64_e32 v[62:63], 4, v[46:47]
	v_mul_f64_e32 v[46:47], s[2:3], v[98:99]
	v_mad_co_u64_u32 v[60:61], null, 0xffffe680, s4, v[60:61]
	s_mulk_i32 s5, 0xe680
	s_delay_alu instid0(VALU_DEP_3)
	v_add_co_u32 v62, vcc_lo, v104, v62
	s_wait_alu 0xfffd
	v_add_co_ci_u32_e32 v63, vcc_lo, v105, v63, vcc_lo
	s_wait_alu 0xfffe
	s_sub_co_i32 s4, s5, s4
	s_wait_alu 0xfffe
	v_add_nc_u32_e32 v61, s4, v61
	global_store_b128 v[62:63], v[4:7], off
	v_add_co_u32 v62, vcc_lo, v60, s0
	s_wait_alu 0xfffd
	v_add_co_ci_u32_e32 v63, vcc_lo, s1, v61, vcc_lo
	v_fma_f64 v[16:17], v[70:71], v[16:17], v[52:53]
	v_fma_f64 v[18:19], v[70:71], v[18:19], -v[54:55]
	global_store_b128 v[60:61], v[32:35], off
	v_add_co_u32 v32, vcc_lo, v62, s0
	s_wait_alu 0xfffd
	v_add_co_ci_u32_e32 v33, vcc_lo, s1, v63, vcc_lo
	s_wait_loadcnt_dscnt 0x4
	v_mul_f64_e32 v[68:69], v[82:83], v[2:3]
	v_mul_f64_e32 v[52:53], v[82:83], v[0:1]
	scratch_load_b128 v[82:85], off, off offset:684 th:TH_LOAD_LU ; 16-byte Folded Reload
	v_fma_f64 v[34:35], v[80:81], v[0:1], v[68:69]
	v_mul_f64_e32 v[0:1], s[2:3], v[100:101]
	s_wait_loadcnt 0x0
	v_mul_f64_e32 v[54:55], v[84:85], v[10:11]
	v_mul_f64_e32 v[70:71], v[84:85], v[8:9]
	scratch_load_b128 v[84:87], off, off offset:700 th:TH_LOAD_LU ; 16-byte Folded Reload
	s_wait_loadcnt_dscnt 0x3
	v_mul_f64_e32 v[72:73], v[86:87], v[22:23]
	v_mul_f64_e32 v[74:75], v[86:87], v[20:21]
	scratch_load_b128 v[86:89], off, off offset:764 th:TH_LOAD_LU ; 16-byte Folded Reload
	s_wait_loadcnt_dscnt 0x2
	v_mul_f64_e32 v[12:13], v[88:89], v[30:31]
	v_mul_f64_e32 v[14:15], v[88:89], v[28:29]
	scratch_load_b128 v[88:91], off, off offset:780 th:TH_LOAD_LU ; 16-byte Folded Reload
	v_fma_f64 v[60:61], v[86:87], v[30:31], -v[14:15]
	v_mul_f64_e32 v[14:15], s[2:3], v[18:19]
	v_mul_f64_e32 v[18:19], s[2:3], v[58:59]
	s_wait_loadcnt_dscnt 0x1
	v_mul_f64_e32 v[76:77], v[90:91], v[26:27]
	v_mul_f64_e32 v[78:79], v[90:91], v[24:25]
	scratch_load_b128 v[90:93], off, off offset:796 th:TH_LOAD_LU ; 16-byte Folded Reload
	global_store_b128 v[62:63], v[40:43], off
	global_store_b128 v[32:33], v[44:47], off
	v_fma_f64 v[40:41], v[80:81], v[2:3], -v[52:53]
	v_fma_f64 v[42:43], v[82:83], v[8:9], v[54:55]
	v_fma_f64 v[44:45], v[82:83], v[10:11], -v[70:71]
	v_fma_f64 v[46:47], v[84:85], v[20:21], v[72:73]
	;; [unrolled: 2-line block ×3, first 2 shown]
	v_mul_f64_e32 v[2:3], s[2:3], v[102:103]
	v_add_co_u32 v74, vcc_lo, v32, s0
	s_wait_alu 0xfffd
	v_add_co_ci_u32_e32 v75, vcc_lo, s1, v33, vcc_lo
	v_mul_f64_e32 v[8:9], s[2:3], v[64:65]
	v_mul_f64_e32 v[10:11], s[2:3], v[66:67]
	;; [unrolled: 1-line block ×6, first 2 shown]
	v_fma_f64 v[62:63], v[88:89], v[24:25], v[76:77]
	v_fma_f64 v[68:69], v[88:89], v[26:27], -v[78:79]
	v_mul_f64_e32 v[22:23], s[2:3], v[40:41]
	v_mul_f64_e32 v[24:25], s[2:3], v[42:43]
	;; [unrolled: 1-line block ×6, first 2 shown]
	global_store_b128 v[74:75], v[0:3], off
	s_wait_loadcnt_dscnt 0x0
	v_mul_f64_e32 v[4:5], v[92:93], v[38:39]
	v_mul_f64_e32 v[6:7], v[92:93], v[36:37]
	s_delay_alu instid0(VALU_DEP_2) | instskip(NEXT) | instid1(VALU_DEP_2)
	v_fma_f64 v[70:71], v[90:91], v[36:37], v[4:5]
	v_fma_f64 v[72:73], v[90:91], v[38:39], -v[6:7]
	v_mul_f64_e32 v[4:5], s[2:3], v[48:49]
	v_mul_f64_e32 v[6:7], s[2:3], v[50:51]
	v_add_co_u32 v48, vcc_lo, v74, s0
	s_wait_alu 0xfffd
	v_add_co_ci_u32_e32 v49, vcc_lo, s1, v75, vcc_lo
	v_mul_f64_e32 v[36:37], s[2:3], v[62:63]
	s_delay_alu instid0(VALU_DEP_3) | instskip(SKIP_1) | instid1(VALU_DEP_3)
	v_add_co_u32 v50, vcc_lo, v48, s0
	s_wait_alu 0xfffd
	v_add_co_ci_u32_e32 v51, vcc_lo, s1, v49, vcc_lo
	v_mul_f64_e32 v[38:39], s[2:3], v[68:69]
	s_delay_alu instid0(VALU_DEP_3) | instskip(SKIP_1) | instid1(VALU_DEP_3)
	v_add_co_u32 v56, vcc_lo, v50, s0
	s_wait_alu 0xfffd
	v_add_co_ci_u32_e32 v57, vcc_lo, s1, v51, vcc_lo
	s_delay_alu instid0(VALU_DEP_2) | instskip(SKIP_1) | instid1(VALU_DEP_2)
	v_add_co_u32 v44, vcc_lo, v56, s6
	s_wait_alu 0xfffd
	v_add_co_ci_u32_e32 v45, vcc_lo, s7, v57, vcc_lo
	s_delay_alu instid0(VALU_DEP_2) | instskip(SKIP_1) | instid1(VALU_DEP_2)
	;; [unrolled: 4-line block ×3, first 2 shown]
	v_add_co_u32 v2, vcc_lo, v0, s0
	s_wait_alu 0xfffd
	v_add_co_ci_u32_e32 v3, vcc_lo, s1, v1, vcc_lo
	v_mul_f64_e32 v[40:41], s[2:3], v[70:71]
	v_mul_f64_e32 v[42:43], s[2:3], v[72:73]
	global_store_b128 v[48:49], v[4:7], off
	v_add_co_u32 v4, vcc_lo, v2, s0
	s_wait_alu 0xfffd
	v_add_co_ci_u32_e32 v5, vcc_lo, s1, v3, vcc_lo
	global_store_b128 v[50:51], v[8:11], off
	v_add_co_u32 v6, vcc_lo, v4, s0
	s_wait_alu 0xfffd
	v_add_co_ci_u32_e32 v7, vcc_lo, s1, v5, vcc_lo
	;; [unrolled: 4-line block ×3, first 2 shown]
	global_store_b128 v[44:45], v[16:19], off
	global_store_b128 v[0:1], v[20:23], off
	v_add_co_u32 v0, vcc_lo, v8, s0
	s_wait_alu 0xfffd
	v_add_co_ci_u32_e32 v1, vcc_lo, s1, v9, vcc_lo
	global_store_b128 v[2:3], v[24:27], off
	global_store_b128 v[4:5], v[28:31], off
	;; [unrolled: 1-line block ×5, first 2 shown]
.LBB0_10:
	s_nop 0
	s_sendmsg sendmsg(MSG_DEALLOC_VGPRS)
	s_endpgm
	.section	.rodata,"a",@progbits
	.p2align	6, 0x0
	.amdhsa_kernel bluestein_single_back_len595_dim1_dp_op_CI_CI
		.amdhsa_group_segment_fixed_size 28560
		.amdhsa_private_segment_fixed_size 2324
		.amdhsa_kernarg_size 104
		.amdhsa_user_sgpr_count 2
		.amdhsa_user_sgpr_dispatch_ptr 0
		.amdhsa_user_sgpr_queue_ptr 0
		.amdhsa_user_sgpr_kernarg_segment_ptr 1
		.amdhsa_user_sgpr_dispatch_id 0
		.amdhsa_user_sgpr_private_segment_size 0
		.amdhsa_wavefront_size32 1
		.amdhsa_uses_dynamic_stack 0
		.amdhsa_enable_private_segment 1
		.amdhsa_system_sgpr_workgroup_id_x 1
		.amdhsa_system_sgpr_workgroup_id_y 0
		.amdhsa_system_sgpr_workgroup_id_z 0
		.amdhsa_system_sgpr_workgroup_info 0
		.amdhsa_system_vgpr_workitem_id 0
		.amdhsa_next_free_vgpr 256
		.amdhsa_next_free_sgpr 60
		.amdhsa_reserve_vcc 1
		.amdhsa_float_round_mode_32 0
		.amdhsa_float_round_mode_16_64 0
		.amdhsa_float_denorm_mode_32 3
		.amdhsa_float_denorm_mode_16_64 3
		.amdhsa_fp16_overflow 0
		.amdhsa_workgroup_processor_mode 1
		.amdhsa_memory_ordered 1
		.amdhsa_forward_progress 0
		.amdhsa_round_robin_scheduling 0
		.amdhsa_exception_fp_ieee_invalid_op 0
		.amdhsa_exception_fp_denorm_src 0
		.amdhsa_exception_fp_ieee_div_zero 0
		.amdhsa_exception_fp_ieee_overflow 0
		.amdhsa_exception_fp_ieee_underflow 0
		.amdhsa_exception_fp_ieee_inexact 0
		.amdhsa_exception_int_div_zero 0
	.end_amdhsa_kernel
	.text
.Lfunc_end0:
	.size	bluestein_single_back_len595_dim1_dp_op_CI_CI, .Lfunc_end0-bluestein_single_back_len595_dim1_dp_op_CI_CI
                                        ; -- End function
	.section	.AMDGPU.csdata,"",@progbits
; Kernel info:
; codeLenInByte = 64260
; NumSgprs: 62
; NumVgprs: 256
; ScratchSize: 2324
; MemoryBound: 0
; FloatMode: 240
; IeeeMode: 1
; LDSByteSize: 28560 bytes/workgroup (compile time only)
; SGPRBlocks: 7
; VGPRBlocks: 31
; NumSGPRsForWavesPerEU: 62
; NumVGPRsForWavesPerEU: 256
; Occupancy: 2
; WaveLimiterHint : 1
; COMPUTE_PGM_RSRC2:SCRATCH_EN: 1
; COMPUTE_PGM_RSRC2:USER_SGPR: 2
; COMPUTE_PGM_RSRC2:TRAP_HANDLER: 0
; COMPUTE_PGM_RSRC2:TGID_X_EN: 1
; COMPUTE_PGM_RSRC2:TGID_Y_EN: 0
; COMPUTE_PGM_RSRC2:TGID_Z_EN: 0
; COMPUTE_PGM_RSRC2:TIDIG_COMP_CNT: 0
	.text
	.p2alignl 7, 3214868480
	.fill 96, 4, 3214868480
	.type	__hip_cuid_2bb6f784eed532d5,@object ; @__hip_cuid_2bb6f784eed532d5
	.section	.bss,"aw",@nobits
	.globl	__hip_cuid_2bb6f784eed532d5
__hip_cuid_2bb6f784eed532d5:
	.byte	0                               ; 0x0
	.size	__hip_cuid_2bb6f784eed532d5, 1

	.ident	"AMD clang version 19.0.0git (https://github.com/RadeonOpenCompute/llvm-project roc-6.4.0 25133 c7fe45cf4b819c5991fe208aaa96edf142730f1d)"
	.section	".note.GNU-stack","",@progbits
	.addrsig
	.addrsig_sym __hip_cuid_2bb6f784eed532d5
	.amdgpu_metadata
---
amdhsa.kernels:
  - .args:
      - .actual_access:  read_only
        .address_space:  global
        .offset:         0
        .size:           8
        .value_kind:     global_buffer
      - .actual_access:  read_only
        .address_space:  global
        .offset:         8
        .size:           8
        .value_kind:     global_buffer
      - .actual_access:  read_only
        .address_space:  global
        .offset:         16
        .size:           8
        .value_kind:     global_buffer
      - .actual_access:  read_only
        .address_space:  global
        .offset:         24
        .size:           8
        .value_kind:     global_buffer
      - .actual_access:  read_only
        .address_space:  global
        .offset:         32
        .size:           8
        .value_kind:     global_buffer
      - .offset:         40
        .size:           8
        .value_kind:     by_value
      - .address_space:  global
        .offset:         48
        .size:           8
        .value_kind:     global_buffer
      - .address_space:  global
        .offset:         56
        .size:           8
        .value_kind:     global_buffer
      - .address_space:  global
        .offset:         64
        .size:           8
        .value_kind:     global_buffer
      - .address_space:  global
        .offset:         72
        .size:           8
        .value_kind:     global_buffer
      - .offset:         80
        .size:           4
        .value_kind:     by_value
      - .address_space:  global
        .offset:         88
        .size:           8
        .value_kind:     global_buffer
      - .address_space:  global
        .offset:         96
        .size:           8
        .value_kind:     global_buffer
    .group_segment_fixed_size: 28560
    .kernarg_segment_align: 8
    .kernarg_segment_size: 104
    .language:       OpenCL C
    .language_version:
      - 2
      - 0
    .max_flat_workgroup_size: 51
    .name:           bluestein_single_back_len595_dim1_dp_op_CI_CI
    .private_segment_fixed_size: 2324
    .sgpr_count:     62
    .sgpr_spill_count: 0
    .symbol:         bluestein_single_back_len595_dim1_dp_op_CI_CI.kd
    .uniform_work_group_size: 1
    .uses_dynamic_stack: false
    .vgpr_count:     256
    .vgpr_spill_count: 767
    .wavefront_size: 32
    .workgroup_processor_mode: 1
amdhsa.target:   amdgcn-amd-amdhsa--gfx1201
amdhsa.version:
  - 1
  - 2
...

	.end_amdgpu_metadata
